;; amdgpu-corpus repo=ROCm/rocFFT kind=compiled arch=gfx1030 opt=O3
	.text
	.amdgcn_target "amdgcn-amd-amdhsa--gfx1030"
	.amdhsa_code_object_version 6
	.protected	bluestein_single_fwd_len1088_dim1_dp_op_CI_CI ; -- Begin function bluestein_single_fwd_len1088_dim1_dp_op_CI_CI
	.globl	bluestein_single_fwd_len1088_dim1_dp_op_CI_CI
	.p2align	8
	.type	bluestein_single_fwd_len1088_dim1_dp_op_CI_CI,@function
bluestein_single_fwd_len1088_dim1_dp_op_CI_CI: ; @bluestein_single_fwd_len1088_dim1_dp_op_CI_CI
; %bb.0:
	s_mov_b64 s[62:63], s[2:3]
	s_mov_b64 s[60:61], s[0:1]
	s_load_dwordx4 s[0:3], s[4:5], 0x28
	v_mul_u32_u24_e32 v1, 0x3c4, v0
	s_add_u32 s60, s60, s7
	s_addc_u32 s61, s61, 0
	v_lshrrev_b32_e32 v1, 16, v1
	v_mad_u64_u32 v[208:209], null, s6, 3, v[1:2]
	v_mov_b32_e32 v209, 0
                                        ; kill: def $vgpr2 killed $sgpr0 killed $exec
	s_waitcnt lgkmcnt(0)
	v_cmp_gt_u64_e32 vcc_lo, s[0:1], v[208:209]
	s_and_saveexec_b32 s0, vcc_lo
	s_cbranch_execz .LBB0_15
; %bb.1:
	v_mul_hi_u32 v2, 0xaaaaaaab, v208
	v_mul_lo_u16 v1, 0x44, v1
	s_clause 0x1
	s_load_dwordx2 s[12:13], s[4:5], 0x0
	s_load_dwordx2 s[14:15], s[4:5], 0x38
	v_sub_nc_u16 v0, v0, v1
	v_lshrrev_b32_e32 v1, 1, v2
	v_and_b32_e32 v239, 0xffff, v0
	v_cmp_gt_u16_e32 vcc_lo, 64, v0
	v_lshl_add_u32 v1, v1, 1, v1
	v_lshlrev_b32_e32 v254, 4, v239
	v_sub_nc_u32_e32 v0, v208, v1
	v_mul_u32_u24_e32 v202, 0x440, v0
	v_or_b32_e32 v0, v202, v239
	v_lshlrev_b32_e32 v248, 4, v0
	s_and_saveexec_b32 s1, vcc_lo
	s_cbranch_execz .LBB0_3
; %bb.2:
	s_load_dwordx2 s[6:7], s[4:5], 0x18
	v_or_b32_e32 v46, 0x140, v239
	v_or_b32_e32 v29, 64, v239
	;; [unrolled: 1-line block ×7, first 2 shown]
	v_lshlrev_b32_e32 v8, 4, v30
	v_or_b32_e32 v69, 0x200, v239
	v_lshlrev_b32_e32 v37, 4, v31
	v_or_b32_e32 v81, 0x240, v239
	v_or_b32_e32 v91, 0x280, v239
	v_lshlrev_b32_e32 v68, 4, v65
	v_or_b32_e32 v92, 0x2c0, v239
	v_lshlrev_b32_e32 v47, 4, v46
	v_or_b32_e32 v114, 0x340, v239
	v_or_b32_e32 v102, 0x300, v239
	;; [unrolled: 1-line block ×4, first 2 shown]
	s_waitcnt lgkmcnt(0)
	s_load_dwordx4 s[8:11], s[6:7], 0x0
	v_or_b32_e32 v125, 0x400, v239
	s_clause 0x2
	global_load_dwordx4 v[4:7], v254, s[12:13]
	global_load_dwordx4 v[0:3], v254, s[12:13] offset:1024
	global_load_dwordx4 v[8:11], v8, s[12:13]
	v_lshlrev_b32_e32 v72, 4, v69
	v_lshlrev_b32_e32 v96, 4, v92
	;; [unrolled: 1-line block ×5, first 2 shown]
	v_lshl_add_u32 v172, v202, 4, v254
	s_waitcnt lgkmcnt(0)
	v_mad_u64_u32 v[12:13], null, s10, v208, 0
	v_mad_u64_u32 v[14:15], null, s8, v239, 0
	;; [unrolled: 1-line block ×8, first 2 shown]
	v_mov_b32_e32 v24, v33
	v_mad_u64_u32 v[27:28], null, s9, v239, v[15:16]
	v_mad_u64_u32 v[40:41], null, s8, v58, 0
	;; [unrolled: 1-line block ×3, first 2 shown]
	v_mov_b32_e32 v13, v26
	v_mad_u64_u32 v[33:34], null, s9, v38, v[23:24]
	v_mad_u64_u32 v[29:30], null, s9, v30, v[19:20]
	v_mov_b32_e32 v15, v27
	v_lshlrev_b64 v[12:13], 4, v[12:13]
	v_mad_u64_u32 v[54:55], null, s8, v65, 0
	v_mad_u64_u32 v[30:31], null, s9, v31, v[21:22]
	v_mov_b32_e32 v25, v41
	v_mov_b32_e32 v17, v28
	v_mad_u64_u32 v[62:63], null, s8, v69, 0
	v_mov_b32_e32 v23, v33
	v_lshlrev_b64 v[14:15], 4, v[14:15]
	v_mov_b32_e32 v19, v29
	v_add_co_u32 v52, s0, s2, v12
	v_mad_u64_u32 v[34:35], null, s9, v46, v[24:25]
	v_lshlrev_b64 v[16:17], 4, v[16:17]
	v_add_co_ci_u32_e64 v53, s0, s3, v13, s0
	v_mov_b32_e32 v44, v55
	v_mov_b32_e32 v21, v30
	v_lshlrev_b64 v[26:27], 4, v[22:23]
	v_lshlrev_b64 v[18:19], 4, v[18:19]
	v_add_co_u32 v12, s0, v52, v14
	v_mov_b32_e32 v56, v63
	v_add_co_ci_u32_e64 v13, s0, v53, v15, s0
	v_mad_u64_u32 v[44:45], null, s9, v65, v[44:45]
	v_lshlrev_b64 v[20:21], 4, v[20:21]
	v_add_co_u32 v14, s0, v52, v16
	v_mad_u64_u32 v[70:71], null, s8, v81, 0
	v_mov_b32_e32 v33, v34
	v_mad_u64_u32 v[41:42], null, s9, v58, v[25:26]
	v_add_co_ci_u32_e64 v15, s0, v53, v17, s0
	v_mad_u64_u32 v[56:57], null, s9, v69, v[56:57]
	v_add_co_u32 v28, s0, v52, v18
	v_add_co_ci_u32_e64 v29, s0, v53, v19, s0
	v_add_co_u32 v30, s0, v52, v20
	v_lshlrev_b64 v[42:43], 4, v[32:33]
	v_mov_b32_e32 v55, v44
	v_add_co_ci_u32_e64 v31, s0, v53, v21, s0
	v_mov_b32_e32 v64, v71
	v_add_co_u32 v35, s0, v52, v26
	v_lshlrev_b64 v[40:41], 4, v[40:41]
	v_mov_b32_e32 v63, v56
	v_add_co_ci_u32_e64 v36, s0, v53, v27, s0
	v_add_co_u32 v42, s0, v52, v42
	v_lshlrev_b64 v[54:55], 4, v[54:55]
	v_mad_u64_u32 v[74:75], null, s8, v91, 0
	v_mad_u64_u32 v[64:65], null, s9, v81, v[64:65]
	v_add_co_ci_u32_e64 v43, s0, v53, v43, s0
	v_add_co_u32 v45, s0, v52, v40
	v_lshlrev_b64 v[62:63], 4, v[62:63]
	v_add_co_ci_u32_e64 v46, s0, v53, v41, s0
	v_lshlrev_b32_e32 v57, 4, v58
	v_add_co_u32 v58, s0, v52, v54
	v_mad_u64_u32 v[82:83], null, s8, v92, 0
	v_add_co_ci_u32_e64 v59, s0, v53, v55, s0
	v_mov_b32_e32 v65, v75
	v_add_co_u32 v66, s0, v52, v62
	v_mov_b32_e32 v71, v64
	v_mad_u64_u32 v[106:107], null, s8, v114, 0
	v_mad_u64_u32 v[75:76], null, s9, v91, v[65:66]
	v_lshlrev_b64 v[77:78], 4, v[70:71]
	v_mov_b32_e32 v76, v83
	v_mad_u64_u32 v[94:95], null, s8, v102, 0
	v_mad_u64_u32 v[108:109], null, s8, v122, 0
	;; [unrolled: 1-line block ×3, first 2 shown]
	v_mov_b32_e32 v100, v107
	v_mad_u64_u32 v[110:111], null, s8, v124, 0
	v_mov_b32_e32 v86, v95
	v_mad_u64_u32 v[118:119], null, s8, v125, 0
	;; [unrolled: 2-line block ×3, first 2 shown]
	v_mov_b32_e32 v101, v109
	v_lshlrev_b64 v[74:75], 4, v[74:75]
	v_lshlrev_b64 v[87:88], 4, v[82:83]
	v_add_co_ci_u32_e64 v67, s0, v53, v63, s0
	v_add_co_u32 v76, s0, v52, v77
	v_mov_b32_e32 v107, v100
	v_mad_u64_u32 v[89:90], null, s9, v102, v[86:87]
	v_lshlrev_b32_e32 v102, 4, v102
	v_add_co_ci_u32_e64 v77, s0, v53, v78, s0
	v_add_co_u32 v84, s0, v52, v74
	v_mad_u64_u32 v[112:113], null, s9, v122, v[101:102]
	v_mov_b32_e32 v95, v89
	v_add_co_ci_u32_e64 v85, s0, v53, v75, s0
	v_add_co_u32 v90, s0, v52, v87
	v_lshlrev_b64 v[98:99], 4, v[94:95]
	v_mov_b32_e32 v109, v112
	v_mad_u64_u32 v[111:112], null, s9, v124, v[111:112]
	v_mov_b32_e32 v112, v119
	v_lshlrev_b64 v[106:107], 4, v[106:107]
	v_lshlrev_b32_e32 v38, 4, v38
	v_lshlrev_b32_e32 v86, 4, v91
	v_add_co_ci_u32_e64 v91, s0, v53, v88, s0
	v_mad_u64_u32 v[112:113], null, s9, v125, v[112:113]
	v_add_co_u32 v98, s0, v52, v98
	v_lshlrev_b64 v[108:109], 4, v[108:109]
	s_clause 0x3
	global_load_dwordx4 v[20:23], v[12:13], off
	global_load_dwordx4 v[16:19], v[14:15], off
	;; [unrolled: 1-line block ×4, first 2 shown]
	global_load_dwordx4 v[28:31], v37, s[12:13]
	v_add_co_ci_u32_e64 v99, s0, v53, v99, s0
	v_mov_b32_e32 v119, v112
	global_load_dwordx4 v[32:35], v[35:36], off
	global_load_dwordx4 v[36:39], v38, s[12:13]
	v_lshlrev_b32_e32 v78, 4, v81
	v_add_co_u32 v106, s0, v52, v106
	v_lshlrev_b64 v[120:121], 4, v[110:111]
	global_load_dwordx4 v[40:43], v[42:43], off
	global_load_dwordx4 v[48:51], v47, s[12:13]
	global_load_dwordx4 v[44:47], v[45:46], off
	global_load_dwordx4 v[54:57], v57, s[12:13]
	v_add_co_ci_u32_e64 v107, s0, v53, v107, s0
	global_load_dwordx4 v[58:61], v[58:59], off
	v_lshlrev_b32_e32 v113, 4, v114
	v_add_co_u32 v114, s0, v52, v108
	v_lshlrev_b64 v[118:119], 4, v[118:119]
	global_load_dwordx4 v[62:65], v68, s[12:13]
	global_load_dwordx4 v[66:69], v[66:67], off
	s_clause 0x1
	global_load_dwordx4 v[70:73], v72, s[12:13]
	global_load_dwordx4 v[78:81], v78, s[12:13]
	s_clause 0x1
	global_load_dwordx4 v[74:77], v[76:77], off
	global_load_dwordx4 v[82:85], v[84:85], off
	v_add_co_ci_u32_e64 v115, s0, v53, v109, s0
	v_add_co_u32 v122, s0, v52, v120
	global_load_dwordx4 v[86:89], v86, s[12:13]
	global_load_dwordx4 v[90:93], v[90:91], off
	global_load_dwordx4 v[94:97], v96, s[12:13]
	global_load_dwordx4 v[98:101], v[98:99], off
	global_load_dwordx4 v[102:105], v102, s[12:13]
	v_add_co_ci_u32_e64 v123, s0, v53, v121, s0
	global_load_dwordx4 v[106:109], v[106:107], off
	v_add_co_u32 v52, s0, v52, v118
	global_load_dwordx4 v[110:113], v113, s[12:13]
	global_load_dwordx4 v[114:117], v[114:115], off
	v_add_co_ci_u32_e64 v53, s0, v53, v119, s0
	global_load_dwordx4 v[118:121], v126, s[12:13]
	global_load_dwordx4 v[122:125], v[122:123], off
	s_clause 0x1
	global_load_dwordx4 v[126:129], v127, s[12:13]
	global_load_dwordx4 v[130:133], v130, s[12:13]
	global_load_dwordx4 v[134:137], v[52:53], off
	s_waitcnt vmcnt(30)
	v_mul_f64 v[52:53], v[22:23], v[6:7]
	v_mul_f64 v[6:7], v[20:21], v[6:7]
	s_waitcnt vmcnt(29)
	v_mul_f64 v[138:139], v[18:19], v[2:3]
	v_mul_f64 v[140:141], v[16:17], v[2:3]
	;; [unrolled: 3-line block ×10, first 2 shown]
	v_fma_f64 v[2:3], v[20:21], v[4:5], v[52:53]
	v_fma_f64 v[4:5], v[22:23], v[4:5], -v[6:7]
	v_fma_f64 v[16:17], v[16:17], v[0:1], v[138:139]
	s_waitcnt vmcnt(12)
	v_mul_f64 v[158:159], v[84:85], v[88:89]
	v_mul_f64 v[88:89], v[82:83], v[88:89]
	s_waitcnt vmcnt(10)
	v_mul_f64 v[160:161], v[92:93], v[96:97]
	v_mul_f64 v[96:97], v[90:91], v[96:97]
	;; [unrolled: 3-line block ×3, first 2 shown]
	v_fma_f64 v[18:19], v[18:19], v[0:1], -v[140:141]
	v_fma_f64 v[6:7], v[12:13], v[8:9], v[142:143]
	s_waitcnt vmcnt(6)
	v_mul_f64 v[164:165], v[108:109], v[112:113]
	v_mul_f64 v[112:113], v[106:107], v[112:113]
	s_waitcnt vmcnt(4)
	v_mul_f64 v[166:167], v[116:117], v[120:121]
	v_mul_f64 v[120:121], v[114:115], v[120:121]
	;; [unrolled: 3-line block ×4, first 2 shown]
	v_fma_f64 v[8:9], v[14:15], v[8:9], -v[10:11]
	v_fma_f64 v[10:11], v[24:25], v[28:29], v[144:145]
	v_fma_f64 v[12:13], v[26:27], v[28:29], -v[30:31]
	v_fma_f64 v[20:21], v[32:33], v[36:37], v[146:147]
	;; [unrolled: 2-line block ×14, first 2 shown]
	v_fma_f64 v[70:71], v[136:137], v[130:131], -v[132:133]
	ds_write_b128 v248, v[2:5]
	ds_write_b128 v172, v[16:19] offset:1024
	ds_write_b128 v172, v[6:9] offset:2048
	;; [unrolled: 1-line block ×16, first 2 shown]
.LBB0_3:
	s_or_b32 exec_lo, exec_lo, s1
	s_clause 0x1
	s_load_dwordx2 s[2:3], s[4:5], 0x20
	s_load_dwordx2 s[0:1], s[4:5], 0x8
	v_lshlrev_b32_e32 v217, 4, v202
	s_waitcnt lgkmcnt(0)
	s_barrier
	buffer_gl0_inv
                                        ; implicit-def: $vgpr4_vgpr5
                                        ; implicit-def: $vgpr56_vgpr57
                                        ; implicit-def: $vgpr48_vgpr49
                                        ; implicit-def: $vgpr44_vgpr45
                                        ; implicit-def: $vgpr36_vgpr37
                                        ; implicit-def: $vgpr28_vgpr29
                                        ; implicit-def: $vgpr24_vgpr25
                                        ; implicit-def: $vgpr12_vgpr13
                                        ; implicit-def: $vgpr8_vgpr9
                                        ; implicit-def: $vgpr16_vgpr17
                                        ; implicit-def: $vgpr20_vgpr21
                                        ; implicit-def: $vgpr32_vgpr33
                                        ; implicit-def: $vgpr40_vgpr41
                                        ; implicit-def: $vgpr52_vgpr53
                                        ; implicit-def: $vgpr60_vgpr61
                                        ; implicit-def: $vgpr64_vgpr65
                                        ; implicit-def: $vgpr68_vgpr69
	s_and_saveexec_b32 s4, vcc_lo
	s_cbranch_execz .LBB0_5
; %bb.4:
	v_lshl_add_u32 v0, v239, 4, v217
	ds_read_b128 v[4:7], v248
	ds_read_b128 v[68:71], v0 offset:1024
	ds_read_b128 v[64:67], v0 offset:2048
	;; [unrolled: 1-line block ×16, first 2 shown]
.LBB0_5:
	s_or_b32 exec_lo, exec_lo, s4
	s_waitcnt lgkmcnt(0)
	v_add_f64 v[158:159], v[70:71], -v[10:11]
	v_add_f64 v[162:163], v[68:69], -v[8:9]
	s_mov_b32 s4, 0x5d8e7cdc
	s_mov_b32 s5, 0xbfd71e95
	v_add_f64 v[156:157], v[8:9], v[68:69]
	v_add_f64 v[164:165], v[10:11], v[70:71]
	v_add_f64 v[102:103], v[66:67], -v[14:15]
	v_add_f64 v[72:73], v[64:65], -v[12:13]
	s_mov_b32 s6, 0x370991
	s_mov_b32 s8, 0x2a9d6da3
	;; [unrolled: 1-line block ×4, first 2 shown]
	v_add_f64 v[74:75], v[12:13], v[64:65]
	v_add_f64 v[106:107], v[14:15], v[66:67]
	v_add_f64 v[110:111], v[58:59], -v[18:19]
	v_add_f64 v[76:77], v[56:57], -v[16:17]
	s_mov_b32 s10, 0x75d4884
	s_mov_b32 s16, 0x7c9e640b
	;; [unrolled: 1-line block ×4, first 2 shown]
	v_add_f64 v[78:79], v[56:57], v[16:17]
	v_add_f64 v[112:113], v[58:59], v[18:19]
	v_mul_f64 v[160:161], v[158:159], s[4:5]
	v_mul_f64 v[166:167], v[162:163], s[4:5]
	v_add_f64 v[80:81], v[48:49], -v[20:21]
	v_add_f64 v[114:115], v[50:51], -v[22:23]
	s_mov_b32 s18, 0x2b2883cd
	s_mov_b32 s36, 0xeb564b22
	v_mul_f64 v[128:129], v[102:103], s[8:9]
	v_mul_f64 v[130:131], v[72:73], s[8:9]
	s_mov_b32 s19, 0x3fdc86fa
	s_mov_b32 s37, 0xbfefdd0d
	v_add_f64 v[82:83], v[48:49], v[20:21]
	v_add_f64 v[116:117], v[50:51], v[22:23]
	v_add_f64 v[84:85], v[60:61], -v[24:25]
	v_add_f64 v[118:119], v[62:63], -v[26:27]
	v_mul_f64 v[132:133], v[110:111], s[16:17]
	v_mul_f64 v[134:135], v[76:77], s[16:17]
	s_mov_b32 s20, 0x3259b75e
	s_mov_b32 s24, 0x923c349f
	;; [unrolled: 1-line block ×4, first 2 shown]
	v_add_f64 v[120:121], v[26:27], v[62:63]
	v_add_f64 v[122:123], v[54:55], -v[30:31]
	v_fma_f64 v[0:1], v[156:157], s[6:7], v[160:161]
	v_fma_f64 v[2:3], v[164:165], s[6:7], -v[166:167]
	v_mul_f64 v[138:139], v[80:81], s[36:37]
	v_mul_f64 v[136:137], v[114:115], s[36:37]
	s_mov_b32 s28, 0xc61f0d01
	s_mov_b32 s22, 0x6c9a05f6
	v_fma_f64 v[86:87], v[74:75], s[10:11], v[128:129]
	v_fma_f64 v[88:89], v[106:107], s[10:11], -v[130:131]
	s_mov_b32 s29, 0xbfd183b1
	s_mov_b32 s23, 0xbfe9895b
	v_add_f64 v[124:125], v[30:31], v[54:55]
	v_add_f64 v[100:101], v[46:47], -v[34:35]
	v_mul_f64 v[142:143], v[84:85], s[24:25]
	v_mul_f64 v[140:141], v[118:119], s[24:25]
	v_fma_f64 v[90:91], v[78:79], s[18:19], v[132:133]
	v_fma_f64 v[92:93], v[112:113], s[18:19], -v[134:135]
	s_mov_b32 s26, 0x6ed5f1bb
	s_mov_b32 s30, 0x4363dd80
	s_mov_b32 s27, 0xbfe348c8
	s_mov_b32 s31, 0xbfe0d888
	v_add_f64 v[126:127], v[46:47], v[34:35]
	v_mul_f64 v[144:145], v[122:123], s[22:23]
	v_add_f64 v[0:1], v[4:5], v[0:1]
	v_add_f64 v[2:3], v[6:7], v[2:3]
	v_fma_f64 v[96:97], v[116:117], s[20:21], -v[138:139]
	v_fma_f64 v[94:95], v[82:83], s[20:21], v[136:137]
	v_add_f64 v[104:105], v[38:39], -v[42:43]
	s_mov_b32 s34, 0x910ea3b9
	s_mov_b32 s40, 0xacd6c6b4
	;; [unrolled: 1-line block ×6, first 2 shown]
	v_mul_f64 v[148:149], v[100:101], s[30:31]
	v_fma_f64 v[108:109], v[120:121], s[28:29], -v[142:143]
	s_barrier
	buffer_gl0_inv
	v_add_f64 v[0:1], v[86:87], v[0:1]
	v_add_f64 v[2:3], v[88:89], v[2:3]
	v_add_f64 v[86:87], v[24:25], v[60:61]
	v_add_f64 v[88:89], v[52:53], -v[28:29]
	v_mul_f64 v[152:153], v[104:105], s[40:41]
	v_add_f64 v[0:1], v[90:91], v[0:1]
	v_add_f64 v[2:3], v[92:93], v[2:3]
	;; [unrolled: 1-line block ×3, first 2 shown]
	v_add_f64 v[92:93], v[44:45], -v[32:33]
	v_mul_f64 v[146:147], v[88:89], s[22:23]
	v_fma_f64 v[98:99], v[86:87], s[28:29], v[140:141]
	v_add_f64 v[0:1], v[94:95], v[0:1]
	v_add_f64 v[2:3], v[96:97], v[2:3]
	;; [unrolled: 1-line block ×3, first 2 shown]
	v_add_f64 v[94:95], v[36:37], -v[40:41]
	v_mul_f64 v[150:151], v[92:93], s[30:31]
	v_fma_f64 v[168:169], v[90:91], s[26:27], v[144:145]
	v_fma_f64 v[170:171], v[124:125], s[26:27], -v[146:147]
	v_add_f64 v[0:1], v[98:99], v[0:1]
	v_add_f64 v[2:3], v[108:109], v[2:3]
	;; [unrolled: 1-line block ×4, first 2 shown]
	v_mul_f64 v[154:155], v[94:95], s[40:41]
	v_fma_f64 v[172:173], v[96:97], s[34:35], v[148:149]
	v_fma_f64 v[174:175], v[126:127], s[34:35], -v[150:151]
	v_add_f64 v[0:1], v[168:169], v[0:1]
	v_add_f64 v[2:3], v[170:171], v[2:3]
	v_fma_f64 v[168:169], v[98:99], s[38:39], v[152:153]
	v_fma_f64 v[170:171], v[108:109], s[38:39], -v[154:155]
	v_add_f64 v[0:1], v[172:173], v[0:1]
	v_add_f64 v[2:3], v[174:175], v[2:3]
	;; [unrolled: 1-line block ×4, first 2 shown]
	s_and_saveexec_b32 s33, vcc_lo
	s_cbranch_execz .LBB0_7
; %bb.6:
	v_add_f64 v[0:1], v[6:7], v[70:71]
	v_add_f64 v[2:3], v[4:5], v[68:69]
	s_mov_b32 s43, 0x3fc7851a
	s_mov_b32 s42, s40
	;; [unrolled: 1-line block ×16, first 2 shown]
	v_mul_f64 v[172:173], v[100:101], s[24:25]
	v_mul_f64 v[174:175], v[108:109], s[20:21]
	v_add_f64 v[0:1], v[66:67], v[0:1]
	v_add_f64 v[2:3], v[64:65], v[2:3]
	v_mul_f64 v[66:67], v[156:157], s[6:7]
	v_add_f64 v[0:1], v[58:59], v[0:1]
	v_add_f64 v[2:3], v[56:57], v[2:3]
	v_add_f64 v[66:67], v[66:67], -v[160:161]
	v_add_f64 v[0:1], v[50:51], v[0:1]
	v_add_f64 v[2:3], v[48:49], v[2:3]
	v_mul_f64 v[48:49], v[158:159], s[16:17]
	v_mul_f64 v[50:51], v[158:159], s[8:9]
	v_add_f64 v[0:1], v[62:63], v[0:1]
	v_add_f64 v[2:3], v[60:61], v[2:3]
	v_fma_f64 v[62:63], v[156:157], s[18:19], v[48:49]
	v_fma_f64 v[48:49], v[156:157], s[18:19], -v[48:49]
	v_fma_f64 v[64:65], v[156:157], s[10:11], v[50:51]
	v_fma_f64 v[50:51], v[156:157], s[10:11], -v[50:51]
	v_add_f64 v[0:1], v[54:55], v[0:1]
	v_add_f64 v[2:3], v[52:53], v[2:3]
	;; [unrolled: 1-line block ×6, first 2 shown]
	v_mul_f64 v[44:45], v[158:159], s[24:25]
	v_mul_f64 v[46:47], v[158:159], s[36:37]
	v_add_f64 v[0:1], v[38:39], v[0:1]
	v_add_f64 v[2:3], v[36:37], v[2:3]
	v_mul_f64 v[38:39], v[158:159], s[40:41]
	v_mul_f64 v[36:37], v[164:165], s[6:7]
	v_fma_f64 v[58:59], v[156:157], s[28:29], v[44:45]
	v_fma_f64 v[44:45], v[156:157], s[28:29], -v[44:45]
	v_fma_f64 v[60:61], v[156:157], s[20:21], v[46:47]
	v_fma_f64 v[46:47], v[156:157], s[20:21], -v[46:47]
	v_add_f64 v[0:1], v[42:43], v[0:1]
	v_add_f64 v[2:3], v[40:41], v[2:3]
	v_mul_f64 v[40:41], v[158:159], s[30:31]
	v_mul_f64 v[42:43], v[158:159], s[22:23]
	v_fma_f64 v[52:53], v[156:157], s[38:39], v[38:39]
	v_fma_f64 v[38:39], v[156:157], s[38:39], -v[38:39]
	v_add_f64 v[36:37], v[166:167], v[36:37]
	v_add_f64 v[58:59], v[4:5], v[58:59]
	;; [unrolled: 1-line block ×7, first 2 shown]
	v_mul_f64 v[32:33], v[164:165], s[10:11]
	v_fma_f64 v[54:55], v[156:157], s[34:35], v[40:41]
	v_fma_f64 v[40:41], v[156:157], s[34:35], -v[40:41]
	v_fma_f64 v[56:57], v[156:157], s[26:27], v[42:43]
	v_fma_f64 v[42:43], v[156:157], s[26:27], -v[42:43]
	v_add_f64 v[52:53], v[4:5], v[52:53]
	v_add_f64 v[38:39], v[4:5], v[38:39]
	;; [unrolled: 1-line block ×5, first 2 shown]
	v_mul_f64 v[28:29], v[164:165], s[18:19]
	v_fma_f64 v[34:35], v[162:163], s[48:49], v[32:33]
	v_fma_f64 v[32:33], v[162:163], s[8:9], v[32:33]
	v_add_f64 v[54:55], v[4:5], v[54:55]
	v_add_f64 v[40:41], v[4:5], v[40:41]
	;; [unrolled: 1-line block ×6, first 2 shown]
	v_mul_f64 v[24:25], v[164:165], s[20:21]
	v_fma_f64 v[30:31], v[162:163], s[50:51], v[28:29]
	v_fma_f64 v[28:29], v[162:163], s[16:17], v[28:29]
	v_add_f64 v[32:33], v[6:7], v[32:33]
	v_add_f64 v[0:1], v[22:23], v[0:1]
	;; [unrolled: 1-line block ×3, first 2 shown]
	v_fma_f64 v[26:27], v[162:163], s[36:37], v[24:25]
	v_fma_f64 v[24:25], v[162:163], s[52:53], v[24:25]
	v_add_f64 v[168:169], v[6:7], v[30:31]
	v_add_f64 v[170:171], v[6:7], v[28:29]
	v_mul_f64 v[28:29], v[120:121], s[26:27]
	v_mul_f64 v[30:31], v[118:119], s[22:23]
	v_add_f64 v[0:1], v[18:19], v[0:1]
	v_add_f64 v[2:3], v[16:17], v[2:3]
	v_mul_f64 v[16:17], v[164:165], s[26:27]
	v_mul_f64 v[18:19], v[164:165], s[28:29]
	v_add_f64 v[166:167], v[6:7], v[24:25]
	v_add_f64 v[24:25], v[4:5], v[64:65]
	v_mul_f64 v[64:65], v[122:123], s[50:51]
	v_add_f64 v[0:1], v[14:15], v[0:1]
	v_add_f64 v[2:3], v[12:13], v[2:3]
	v_mul_f64 v[12:13], v[164:165], s[38:39]
	v_mul_f64 v[14:15], v[164:165], s[34:35]
	v_fma_f64 v[20:21], v[162:163], s[46:47], v[16:17]
	v_fma_f64 v[16:17], v[162:163], s[22:23], v[16:17]
	;; [unrolled: 1-line block ×4, first 2 shown]
	v_add_f64 v[164:165], v[6:7], v[26:27]
	v_add_f64 v[26:27], v[6:7], v[34:35]
	;; [unrolled: 1-line block ×4, first 2 shown]
	v_mul_f64 v[66:67], v[126:127], s[28:29]
	v_add_f64 v[10:11], v[10:11], v[0:1]
	v_add_f64 v[8:9], v[8:9], v[2:3]
	v_fma_f64 v[0:1], v[162:163], s[42:43], v[12:13]
	v_fma_f64 v[2:3], v[162:163], s[40:41], v[12:13]
	;; [unrolled: 1-line block ×4, first 2 shown]
	v_add_f64 v[158:159], v[6:7], v[16:17]
	v_mul_f64 v[16:17], v[112:113], s[34:35]
	v_add_f64 v[156:157], v[6:7], v[20:21]
	v_add_f64 v[160:161], v[6:7], v[22:23]
	;; [unrolled: 1-line block ×3, first 2 shown]
	v_mul_f64 v[18:19], v[110:111], s[30:31]
	v_mul_f64 v[20:21], v[116:117], s[10:11]
	;; [unrolled: 1-line block ×3, first 2 shown]
	v_add_f64 v[0:1], v[6:7], v[0:1]
	v_add_f64 v[2:3], v[6:7], v[2:3]
	;; [unrolled: 1-line block ×3, first 2 shown]
	v_mul_f64 v[12:13], v[106:107], s[6:7]
	v_add_f64 v[70:71], v[6:7], v[14:15]
	v_mul_f64 v[14:15], v[102:103], s[54:55]
	v_fma_f64 v[6:7], v[76:77], s[44:45], v[16:17]
	v_fma_f64 v[4:5], v[72:73], s[4:5], v[12:13]
	;; [unrolled: 1-line block ×3, first 2 shown]
	v_add_f64 v[0:1], v[4:5], v[0:1]
	v_fma_f64 v[4:5], v[74:75], s[6:7], v[14:15]
	v_add_f64 v[2:3], v[12:13], v[2:3]
	v_fma_f64 v[12:13], v[74:75], s[6:7], -v[14:15]
	v_fma_f64 v[14:15], v[76:77], s[30:31], v[16:17]
	v_add_f64 v[0:1], v[6:7], v[0:1]
	v_add_f64 v[4:5], v[4:5], v[52:53]
	v_fma_f64 v[6:7], v[78:79], s[34:35], v[18:19]
	v_add_f64 v[12:13], v[12:13], v[38:39]
	v_add_f64 v[2:3], v[14:15], v[2:3]
	v_fma_f64 v[14:15], v[78:79], s[34:35], -v[18:19]
	v_mul_f64 v[52:53], v[124:125], s[18:19]
	v_mul_f64 v[38:39], v[114:115], s[46:47]
	v_add_f64 v[4:5], v[6:7], v[4:5]
	v_fma_f64 v[6:7], v[80:81], s[8:9], v[20:21]
	v_add_f64 v[12:13], v[14:15], v[12:13]
	v_fma_f64 v[14:15], v[80:81], s[48:49], v[20:21]
	v_mul_f64 v[20:21], v[102:103], s[50:51]
	v_add_f64 v[0:1], v[6:7], v[0:1]
	v_fma_f64 v[6:7], v[82:83], s[10:11], v[22:23]
	v_add_f64 v[2:3], v[14:15], v[2:3]
	v_fma_f64 v[14:15], v[82:83], s[10:11], -v[22:23]
	v_mul_f64 v[22:23], v[112:113], s[20:21]
	v_fma_f64 v[16:17], v[74:75], s[18:19], v[20:21]
	v_fma_f64 v[20:21], v[74:75], s[18:19], -v[20:21]
	v_add_f64 v[4:5], v[6:7], v[4:5]
	v_fma_f64 v[6:7], v[84:85], s[46:47], v[28:29]
	v_add_f64 v[12:13], v[14:15], v[12:13]
	v_fma_f64 v[14:15], v[84:85], s[22:23], v[28:29]
	v_fma_f64 v[18:19], v[76:77], s[52:53], v[22:23]
	v_mul_f64 v[28:29], v[110:111], s[36:37]
	v_add_f64 v[16:17], v[16:17], v[54:55]
	v_fma_f64 v[22:23], v[76:77], s[36:37], v[22:23]
	v_add_f64 v[20:21], v[20:21], v[40:41]
	v_mul_f64 v[54:55], v[118:119], s[4:5]
	v_mul_f64 v[40:41], v[112:113], s[6:7]
	v_add_f64 v[0:1], v[6:7], v[0:1]
	v_fma_f64 v[6:7], v[86:87], s[26:27], v[30:31]
	v_add_f64 v[2:3], v[14:15], v[2:3]
	v_fma_f64 v[14:15], v[86:87], s[26:27], -v[30:31]
	v_mul_f64 v[30:31], v[116:117], s[26:27]
	v_add_f64 v[4:5], v[6:7], v[4:5]
	v_fma_f64 v[6:7], v[88:89], s[16:17], v[52:53]
	v_add_f64 v[12:13], v[14:15], v[12:13]
	v_fma_f64 v[14:15], v[88:89], s[50:51], v[52:53]
	v_mul_f64 v[52:53], v[120:121], s[6:7]
	v_add_f64 v[0:1], v[6:7], v[0:1]
	v_fma_f64 v[6:7], v[90:91], s[18:19], v[64:65]
	v_add_f64 v[2:3], v[14:15], v[2:3]
	v_fma_f64 v[14:15], v[90:91], s[18:19], -v[64:65]
	v_mul_f64 v[64:65], v[124:125], s[38:39]
	v_add_f64 v[4:5], v[6:7], v[4:5]
	v_fma_f64 v[6:7], v[92:93], s[56:57], v[66:67]
	v_add_f64 v[12:13], v[14:15], v[12:13]
	v_fma_f64 v[14:15], v[92:93], s[24:25], v[66:67]
	;; [unrolled: 10-line block ×3, first 2 shown]
	v_mul_f64 v[174:175], v[108:109], s[28:29]
	v_add_f64 v[6:7], v[6:7], v[0:1]
	v_mul_f64 v[0:1], v[104:105], s[52:53]
	v_add_f64 v[14:15], v[14:15], v[2:3]
	v_fma_f64 v[176:177], v[98:99], s[20:21], v[0:1]
	v_fma_f64 v[0:1], v[98:99], s[20:21], -v[0:1]
	v_add_f64 v[4:5], v[176:177], v[4:5]
	v_add_f64 v[12:13], v[0:1], v[12:13]
	v_mul_f64 v[0:1], v[106:107], s[18:19]
	v_fma_f64 v[2:3], v[72:73], s[16:17], v[0:1]
	v_fma_f64 v[0:1], v[72:73], s[50:51], v[0:1]
	v_add_f64 v[2:3], v[2:3], v[68:69]
	v_add_f64 v[0:1], v[0:1], v[70:71]
	v_mul_f64 v[68:69], v[126:127], s[10:11]
	v_mul_f64 v[70:71], v[122:123], s[8:9]
	v_add_f64 v[2:3], v[18:19], v[2:3]
	v_fma_f64 v[18:19], v[78:79], s[20:21], v[28:29]
	v_add_f64 v[0:1], v[22:23], v[0:1]
	v_fma_f64 v[22:23], v[78:79], s[20:21], -v[28:29]
	v_add_f64 v[16:17], v[18:19], v[16:17]
	v_fma_f64 v[18:19], v[80:81], s[22:23], v[30:31]
	v_add_f64 v[20:21], v[22:23], v[20:21]
	v_fma_f64 v[22:23], v[80:81], s[46:47], v[30:31]
	v_fma_f64 v[30:31], v[76:77], s[54:55], v[40:41]
	;; [unrolled: 1-line block ×3, first 2 shown]
	v_add_f64 v[2:3], v[18:19], v[2:3]
	v_fma_f64 v[18:19], v[82:83], s[26:27], v[38:39]
	v_add_f64 v[0:1], v[22:23], v[0:1]
	v_fma_f64 v[22:23], v[82:83], s[26:27], -v[38:39]
	v_mul_f64 v[38:39], v[102:103], s[56:57]
	v_add_f64 v[16:17], v[18:19], v[16:17]
	v_fma_f64 v[18:19], v[84:85], s[54:55], v[52:53]
	v_add_f64 v[20:21], v[22:23], v[20:21]
	v_fma_f64 v[22:23], v[84:85], s[4:5], v[52:53]
	v_fma_f64 v[28:29], v[74:75], s[28:29], v[38:39]
	v_mul_f64 v[52:53], v[110:111], s[4:5]
	v_fma_f64 v[38:39], v[74:75], s[28:29], -v[38:39]
	v_add_f64 v[2:3], v[18:19], v[2:3]
	v_fma_f64 v[18:19], v[86:87], s[6:7], v[54:55]
	v_add_f64 v[0:1], v[22:23], v[0:1]
	v_fma_f64 v[22:23], v[86:87], s[6:7], -v[54:55]
	v_mul_f64 v[54:55], v[116:117], s[34:35]
	v_add_f64 v[38:39], v[38:39], v[42:43]
	v_add_f64 v[28:29], v[28:29], v[56:57]
	v_mul_f64 v[56:57], v[114:115], s[30:31]
	v_mul_f64 v[42:43], v[74:75], s[10:11]
	v_add_f64 v[16:17], v[18:19], v[16:17]
	v_fma_f64 v[18:19], v[88:89], s[42:43], v[64:65]
	v_add_f64 v[20:21], v[22:23], v[20:21]
	v_fma_f64 v[22:23], v[88:89], s[40:41], v[64:65]
	v_mul_f64 v[64:65], v[120:121], s[20:21]
	v_add_f64 v[42:43], v[42:43], -v[128:129]
	v_add_f64 v[2:3], v[18:19], v[2:3]
	v_fma_f64 v[18:19], v[90:91], s[38:39], v[66:67]
	v_add_f64 v[0:1], v[22:23], v[0:1]
	v_fma_f64 v[22:23], v[90:91], s[38:39], -v[66:67]
	v_mul_f64 v[66:67], v[118:119], s[52:53]
	v_add_f64 v[42:43], v[42:43], v[50:51]
	v_mul_f64 v[50:51], v[116:117], s[20:21]
	v_add_f64 v[16:17], v[18:19], v[16:17]
	v_fma_f64 v[18:19], v[92:93], s[8:9], v[68:69]
	v_add_f64 v[20:21], v[22:23], v[20:21]
	v_fma_f64 v[22:23], v[92:93], s[48:49], v[68:69]
	v_mul_f64 v[68:69], v[124:125], s[10:11]
	v_add_f64 v[50:51], v[138:139], v[50:51]
	v_add_f64 v[2:3], v[18:19], v[2:3]
	v_fma_f64 v[18:19], v[96:97], s[10:11], v[172:173]
	v_add_f64 v[0:1], v[22:23], v[0:1]
	v_fma_f64 v[22:23], v[96:97], s[10:11], -v[172:173]
	v_mul_f64 v[172:173], v[100:101], s[40:41]
	v_add_f64 v[16:17], v[18:19], v[16:17]
	v_fma_f64 v[18:19], v[94:95], s[56:57], v[174:175]
	v_add_f64 v[20:21], v[22:23], v[20:21]
	v_fma_f64 v[22:23], v[94:95], s[24:25], v[174:175]
	v_mul_f64 v[174:175], v[108:109], s[18:19]
	v_add_f64 v[18:19], v[18:19], v[2:3]
	v_mul_f64 v[2:3], v[104:105], s[24:25]
	v_add_f64 v[22:23], v[22:23], v[0:1]
	v_mul_f64 v[0:1], v[106:107], s[28:29]
	v_fma_f64 v[176:177], v[98:99], s[28:29], v[2:3]
	v_fma_f64 v[2:3], v[98:99], s[28:29], -v[2:3]
	v_add_f64 v[16:17], v[176:177], v[16:17]
	v_add_f64 v[20:21], v[2:3], v[20:21]
	v_fma_f64 v[2:3], v[72:73], s[24:25], v[0:1]
	v_fma_f64 v[0:1], v[72:73], s[56:57], v[0:1]
	v_add_f64 v[2:3], v[2:3], v[156:157]
	v_add_f64 v[0:1], v[0:1], v[158:159]
	v_mul_f64 v[156:157], v[126:127], s[38:39]
	v_add_f64 v[2:3], v[30:31], v[2:3]
	v_add_f64 v[0:1], v[40:41], v[0:1]
	v_fma_f64 v[40:41], v[78:79], s[6:7], -v[52:53]
	v_fma_f64 v[30:31], v[78:79], s[6:7], v[52:53]
	v_mul_f64 v[52:53], v[112:113], s[18:19]
	v_add_f64 v[38:39], v[40:41], v[38:39]
	v_fma_f64 v[40:41], v[80:81], s[30:31], v[54:55]
	v_add_f64 v[52:53], v[134:135], v[52:53]
	v_add_f64 v[28:29], v[30:31], v[28:29]
	v_fma_f64 v[30:31], v[80:81], s[44:45], v[54:55]
	v_add_f64 v[0:1], v[40:41], v[0:1]
	v_fma_f64 v[40:41], v[82:83], s[34:35], -v[56:57]
	v_add_f64 v[2:3], v[30:31], v[2:3]
	v_fma_f64 v[30:31], v[82:83], s[34:35], v[56:57]
	v_add_f64 v[38:39], v[40:41], v[38:39]
	v_fma_f64 v[40:41], v[84:85], s[52:53], v[64:65]
	v_add_f64 v[28:29], v[30:31], v[28:29]
	v_fma_f64 v[30:31], v[84:85], s[36:37], v[64:65]
	v_add_f64 v[0:1], v[40:41], v[0:1]
	v_fma_f64 v[40:41], v[86:87], s[20:21], -v[66:67]
	v_add_f64 v[2:3], v[30:31], v[2:3]
	v_fma_f64 v[30:31], v[86:87], s[20:21], v[66:67]
	v_add_f64 v[38:39], v[40:41], v[38:39]
	v_fma_f64 v[40:41], v[88:89], s[8:9], v[68:69]
	;; [unrolled: 8-line block ×3, first 2 shown]
	v_add_f64 v[28:29], v[30:31], v[28:29]
	v_fma_f64 v[30:31], v[92:93], s[42:43], v[156:157]
	v_add_f64 v[0:1], v[40:41], v[0:1]
	v_fma_f64 v[40:41], v[96:97], s[38:39], -v[172:173]
	v_add_f64 v[2:3], v[30:31], v[2:3]
	v_fma_f64 v[30:31], v[96:97], s[38:39], v[172:173]
	v_add_f64 v[38:39], v[40:41], v[38:39]
	v_mul_f64 v[40:41], v[106:107], s[10:11]
	v_add_f64 v[28:29], v[30:31], v[28:29]
	v_fma_f64 v[30:31], v[94:95], s[16:17], v[174:175]
	v_add_f64 v[40:41], v[130:131], v[40:41]
	v_add_f64 v[30:31], v[30:31], v[2:3]
	v_mul_f64 v[2:3], v[104:105], s[50:51]
	v_add_f64 v[36:37], v[40:41], v[36:37]
	v_mul_f64 v[40:41], v[78:79], s[18:19]
	v_fma_f64 v[176:177], v[98:99], s[18:19], v[2:3]
	v_fma_f64 v[2:3], v[98:99], s[18:19], -v[2:3]
	v_add_f64 v[36:37], v[52:53], v[36:37]
	v_add_f64 v[40:41], v[40:41], -v[132:133]
	v_mul_f64 v[52:53], v[82:83], s[20:21]
	v_add_f64 v[28:29], v[176:177], v[28:29]
	v_add_f64 v[36:37], v[50:51], v[36:37]
	;; [unrolled: 1-line block ×3, first 2 shown]
	v_add_f64 v[52:53], v[52:53], -v[136:137]
	v_mul_f64 v[42:43], v[120:121], s[28:29]
	v_mul_f64 v[50:51], v[86:87], s[28:29]
	v_add_f64 v[40:41], v[52:53], v[40:41]
	v_add_f64 v[42:43], v[142:143], v[42:43]
	v_mul_f64 v[52:53], v[124:125], s[26:27]
	v_add_f64 v[50:51], v[50:51], -v[140:141]
	v_mul_f64 v[142:143], v[102:103], s[22:23]
	v_add_f64 v[36:37], v[42:43], v[36:37]
	v_add_f64 v[52:53], v[146:147], v[52:53]
	v_mul_f64 v[42:43], v[90:91], s[26:27]
	v_add_f64 v[40:41], v[50:51], v[40:41]
	v_mul_f64 v[50:51], v[126:127], s[34:35]
	v_add_f64 v[36:37], v[52:53], v[36:37]
	v_add_f64 v[42:43], v[42:43], -v[144:145]
	v_mul_f64 v[52:53], v[96:97], s[34:35]
	v_fma_f64 v[144:145], v[74:75], s[26:27], -v[142:143]
	v_add_f64 v[50:51], v[150:151], v[50:51]
	v_add_f64 v[40:41], v[42:43], v[40:41]
	v_add_f64 v[52:53], v[52:53], -v[148:149]
	v_add_f64 v[48:49], v[144:145], v[48:49]
	v_mul_f64 v[144:145], v[112:113], s[38:39]
	v_add_f64 v[36:37], v[50:51], v[36:37]
	v_mul_f64 v[50:51], v[98:99], s[38:39]
	v_mul_f64 v[42:43], v[108:109], s[38:39]
	v_add_f64 v[40:41], v[52:53], v[40:41]
	v_mul_f64 v[52:53], v[106:107], s[20:21]
	v_fma_f64 v[146:147], v[76:77], s[42:43], v[144:145]
	v_add_f64 v[50:51], v[50:51], -v[152:153]
	v_add_f64 v[42:43], v[154:155], v[42:43]
	v_fma_f64 v[54:55], v[72:73], s[36:37], v[52:53]
	v_fma_f64 v[52:53], v[72:73], s[52:53], v[52:53]
	v_add_f64 v[32:33], v[54:55], v[32:33]
	v_mul_f64 v[54:55], v[102:103], s[36:37]
	v_add_f64 v[26:27], v[52:53], v[26:27]
	v_fma_f64 v[56:57], v[74:75], s[20:21], -v[54:55]
	v_fma_f64 v[54:55], v[74:75], s[20:21], v[54:55]
	v_add_f64 v[34:35], v[56:57], v[34:35]
	v_mul_f64 v[56:57], v[112:113], s[26:27]
	v_add_f64 v[24:25], v[54:55], v[24:25]
	v_fma_f64 v[64:65], v[76:77], s[22:23], v[56:57]
	v_fma_f64 v[56:57], v[76:77], s[46:47], v[56:57]
	v_add_f64 v[32:33], v[64:65], v[32:33]
	v_mul_f64 v[64:65], v[110:111], s[22:23]
	v_add_f64 v[26:27], v[56:57], v[26:27]
	v_fma_f64 v[66:67], v[78:79], s[26:27], -v[64:65]
	v_fma_f64 v[52:53], v[78:79], s[26:27], v[64:65]
	v_add_f64 v[34:35], v[66:67], v[34:35]
	v_mul_f64 v[66:67], v[116:117], s[38:39]
	v_add_f64 v[24:25], v[52:53], v[24:25]
	v_fma_f64 v[68:69], v[80:81], s[40:41], v[66:67]
	v_add_f64 v[32:33], v[68:69], v[32:33]
	v_mul_f64 v[68:69], v[114:115], s[40:41]
	v_fma_f64 v[70:71], v[82:83], s[38:39], -v[68:69]
	v_fma_f64 v[56:57], v[82:83], s[38:39], v[68:69]
	v_add_f64 v[34:35], v[70:71], v[34:35]
	v_mul_f64 v[70:71], v[120:121], s[34:35]
	v_add_f64 v[24:25], v[56:57], v[24:25]
	v_fma_f64 v[128:129], v[84:85], s[44:45], v[70:71]
	v_add_f64 v[32:33], v[128:129], v[32:33]
	v_mul_f64 v[128:129], v[118:119], s[44:45]
	v_fma_f64 v[130:131], v[86:87], s[34:35], -v[128:129]
	v_add_f64 v[34:35], v[130:131], v[34:35]
	v_mul_f64 v[130:131], v[124:125], s[28:29]
	v_fma_f64 v[132:133], v[88:89], s[56:57], v[130:131]
	v_add_f64 v[32:33], v[132:133], v[32:33]
	v_mul_f64 v[132:133], v[122:123], s[56:57]
	v_fma_f64 v[134:135], v[90:91], s[28:29], -v[132:133]
	v_add_f64 v[34:35], v[134:135], v[34:35]
	v_mul_f64 v[134:135], v[126:127], s[18:19]
	v_fma_f64 v[136:137], v[92:93], s[50:51], v[134:135]
	v_add_f64 v[136:137], v[136:137], v[32:33]
	v_mul_f64 v[32:33], v[100:101], s[50:51]
	v_fma_f64 v[138:139], v[96:97], s[18:19], -v[32:33]
	v_fma_f64 v[32:33], v[96:97], s[18:19], v[32:33]
	v_add_f64 v[138:139], v[138:139], v[34:35]
	v_mul_f64 v[34:35], v[106:107], s[26:27]
	v_fma_f64 v[140:141], v[72:73], s[22:23], v[34:35]
	v_fma_f64 v[34:35], v[72:73], s[46:47], v[34:35]
	v_add_f64 v[140:141], v[140:141], v[170:171]
	v_add_f64 v[34:35], v[34:35], v[168:169]
	;; [unrolled: 1-line block ×3, first 2 shown]
	v_mul_f64 v[146:147], v[110:111], s[42:43]
	v_fma_f64 v[148:149], v[78:79], s[38:39], -v[146:147]
	v_add_f64 v[48:49], v[148:149], v[48:49]
	v_mul_f64 v[148:149], v[116:117], s[28:29]
	v_fma_f64 v[150:151], v[80:81], s[56:57], v[148:149]
	v_add_f64 v[140:141], v[150:151], v[140:141]
	v_mul_f64 v[150:151], v[114:115], s[56:57]
	v_fma_f64 v[152:153], v[82:83], s[28:29], -v[150:151]
	v_fma_f64 v[54:55], v[82:83], s[28:29], v[150:151]
	v_add_f64 v[48:49], v[152:153], v[48:49]
	v_mul_f64 v[152:153], v[120:121], s[10:11]
	v_fma_f64 v[154:155], v[84:85], s[48:49], v[152:153]
	v_add_f64 v[140:141], v[154:155], v[140:141]
	v_mul_f64 v[154:155], v[118:119], s[48:49]
	v_fma_f64 v[156:157], v[86:87], s[10:11], -v[154:155]
	v_fma_f64 v[52:53], v[86:87], s[10:11], v[154:155]
	v_add_f64 v[48:49], v[156:157], v[48:49]
	v_mul_f64 v[156:157], v[124:125], s[6:7]
	v_fma_f64 v[158:159], v[88:89], s[4:5], v[156:157]
	v_fma_f64 v[64:65], v[88:89], s[54:55], v[156:157]
	v_add_f64 v[140:141], v[158:159], v[140:141]
	v_mul_f64 v[158:159], v[122:123], s[4:5]
	v_fma_f64 v[170:171], v[90:91], s[6:7], -v[158:159]
	v_fma_f64 v[68:69], v[90:91], s[6:7], v[158:159]
	v_add_f64 v[48:49], v[170:171], v[48:49]
	v_mul_f64 v[170:171], v[126:127], s[20:21]
	v_fma_f64 v[172:173], v[92:93], s[36:37], v[170:171]
	v_add_f64 v[140:141], v[172:173], v[140:141]
	v_mul_f64 v[172:173], v[100:101], s[36:37]
	v_fma_f64 v[176:177], v[96:97], s[20:21], -v[172:173]
	v_add_f64 v[48:49], v[176:177], v[48:49]
	v_mul_f64 v[176:177], v[106:107], s[38:39]
	v_fma_f64 v[178:179], v[72:73], s[40:41], v[176:177]
	v_add_f64 v[164:165], v[178:179], v[164:165]
	v_mul_f64 v[178:179], v[112:113], s[28:29]
	v_mul_f64 v[112:113], v[112:113], s[10:11]
	v_fma_f64 v[180:181], v[76:77], s[56:57], v[178:179]
	v_add_f64 v[164:165], v[180:181], v[164:165]
	v_mul_f64 v[180:181], v[102:103], s[40:41]
	v_mul_f64 v[102:103], v[102:103], s[44:45]
	v_fma_f64 v[182:183], v[74:75], s[38:39], -v[180:181]
	v_add_f64 v[46:47], v[182:183], v[46:47]
	v_mul_f64 v[182:183], v[116:117], s[6:7]
	v_mul_f64 v[116:117], v[116:117], s[18:19]
	v_fma_f64 v[184:185], v[80:81], s[54:55], v[182:183]
	v_add_f64 v[164:165], v[184:185], v[164:165]
	v_mul_f64 v[184:185], v[110:111], s[56:57]
	v_mul_f64 v[110:111], v[110:111], s[48:49]
	v_fma_f64 v[186:187], v[78:79], s[28:29], -v[184:185]
	;; [unrolled: 8-line block ×5, first 2 shown]
	v_fma_f64 v[56:57], v[90:91], s[34:35], v[196:197]
	v_add_f64 v[46:47], v[198:199], v[46:47]
	v_mul_f64 v[198:199], v[100:101], s[46:47]
	v_fma_f64 v[200:201], v[96:97], s[26:27], -v[198:199]
	v_add_f64 v[200:201], v[200:201], v[46:47]
	v_mul_f64 v[46:47], v[106:107], s[34:35]
	v_fma_f64 v[106:107], v[72:73], s[44:45], v[46:47]
	v_fma_f64 v[46:47], v[72:73], s[30:31], v[46:47]
	v_add_f64 v[106:107], v[106:107], v[162:163]
	v_fma_f64 v[162:163], v[74:75], s[34:35], -v[102:103]
	v_add_f64 v[46:47], v[46:47], v[160:161]
	v_fma_f64 v[102:103], v[74:75], s[34:35], v[102:103]
	v_add_f64 v[44:45], v[162:163], v[44:45]
	v_fma_f64 v[162:163], v[76:77], s[48:49], v[112:113]
	v_fma_f64 v[112:113], v[76:77], s[8:9], v[112:113]
	v_add_f64 v[58:59], v[102:103], v[58:59]
	v_fma_f64 v[102:103], v[88:89], s[36:37], v[124:125]
	v_add_f64 v[106:107], v[162:163], v[106:107]
	v_add_f64 v[46:47], v[112:113], v[46:47]
	v_fma_f64 v[112:113], v[80:81], s[50:51], v[116:117]
	v_fma_f64 v[162:163], v[78:79], s[10:11], -v[110:111]
	v_add_f64 v[46:47], v[112:113], v[46:47]
	v_fma_f64 v[112:113], v[84:85], s[42:43], v[120:121]
	v_add_f64 v[44:45], v[162:163], v[44:45]
	v_fma_f64 v[162:163], v[80:81], s[16:17], v[116:117]
	v_add_f64 v[46:47], v[112:113], v[46:47]
	v_add_f64 v[106:107], v[162:163], v[106:107]
	v_fma_f64 v[162:163], v[82:83], s[18:19], -v[114:115]
	v_add_f64 v[46:47], v[102:103], v[46:47]
	v_fma_f64 v[102:103], v[78:79], s[10:11], v[110:111]
	v_fma_f64 v[110:111], v[74:75], s[38:39], v[180:181]
	v_add_f64 v[44:45], v[162:163], v[44:45]
	v_fma_f64 v[162:163], v[84:85], s[40:41], v[120:121]
	v_add_f64 v[58:59], v[102:103], v[58:59]
	;; [unrolled: 2-line block ×4, first 2 shown]
	v_fma_f64 v[162:163], v[86:87], s[38:39], -v[118:119]
	v_add_f64 v[58:59], v[102:103], v[58:59]
	v_fma_f64 v[102:103], v[86:87], s[38:39], v[118:119]
	v_add_f64 v[44:45], v[162:163], v[44:45]
	v_fma_f64 v[162:163], v[88:89], s[52:53], v[124:125]
	;; [unrolled: 2-line block ×3, first 2 shown]
	v_add_f64 v[106:107], v[162:163], v[106:107]
	v_fma_f64 v[162:163], v[90:91], s[20:21], -v[122:123]
	v_add_f64 v[58:59], v[102:103], v[58:59]
	v_fma_f64 v[102:103], v[72:73], s[42:43], v[176:177]
	v_fma_f64 v[72:73], v[78:79], s[38:39], v[146:147]
	v_add_f64 v[44:45], v[162:163], v[44:45]
	v_fma_f64 v[162:163], v[92:93], s[4:5], v[126:127]
	v_add_f64 v[102:103], v[102:103], v[166:167]
	v_add_f64 v[106:107], v[162:163], v[106:107]
	;; [unrolled: 1-line block ×3, first 2 shown]
	v_fma_f64 v[110:111], v[78:79], s[28:29], v[184:185]
	v_fma_f64 v[78:79], v[92:93], s[54:55], v[126:127]
	v_add_f64 v[60:61], v[110:111], v[60:61]
	v_fma_f64 v[110:111], v[80:81], s[4:5], v[182:183]
	v_add_f64 v[78:79], v[78:79], v[46:47]
	v_add_f64 v[102:103], v[110:111], v[102:103]
	v_fma_f64 v[110:111], v[82:83], s[6:7], v[188:189]
	v_fma_f64 v[82:83], v[92:93], s[22:23], v[194:195]
	v_add_f64 v[60:61], v[110:111], v[60:61]
	v_fma_f64 v[110:111], v[84:85], s[50:51], v[186:187]
	v_add_f64 v[102:103], v[110:111], v[102:103]
	;; [unrolled: 2-line block ×4, first 2 shown]
	v_add_f64 v[102:103], v[110:111], v[102:103]
	v_fma_f64 v[110:111], v[76:77], s[40:41], v[144:145]
	v_mul_f64 v[60:61], v[108:109], s[6:7]
	v_mul_f64 v[76:77], v[104:105], s[30:31]
	v_add_f64 v[82:83], v[82:83], v[102:103]
	v_add_f64 v[34:35], v[110:111], v[34:35]
	v_fma_f64 v[110:111], v[80:81], s[24:25], v[148:149]
	v_add_f64 v[34:35], v[110:111], v[34:35]
	v_fma_f64 v[110:111], v[84:85], s[8:9], v[152:153]
	;; [unrolled: 2-line block ×3, first 2 shown]
	v_fma_f64 v[74:75], v[90:91], s[28:29], v[132:133]
	v_fma_f64 v[90:91], v[92:93], s[52:53], v[170:171]
	;; [unrolled: 1-line block ×3, first 2 shown]
	v_add_f64 v[34:35], v[64:65], v[34:35]
	v_add_f64 v[62:63], v[110:111], v[62:63]
	;; [unrolled: 1-line block ×3, first 2 shown]
	v_mul_f64 v[72:73], v[104:105], s[54:55]
	v_add_f64 v[54:55], v[54:55], v[62:63]
	v_fma_f64 v[62:63], v[80:81], s[42:43], v[66:67]
	v_mul_f64 v[66:67], v[100:101], s[4:5]
	v_mul_f64 v[80:81], v[108:109], s[26:27]
	v_fma_f64 v[100:101], v[96:97], s[20:21], v[172:173]
	v_add_f64 v[52:53], v[52:53], v[54:55]
	v_fma_f64 v[54:55], v[84:85], s[30:31], v[70:71]
	v_add_f64 v[26:27], v[62:63], v[26:27]
	v_fma_f64 v[62:63], v[86:87], s[34:35], v[128:129]
	v_fma_f64 v[70:71], v[88:89], s[24:25], v[130:131]
	v_fma_f64 v[64:65], v[96:97], s[6:7], -v[66:67]
	v_fma_f64 v[66:67], v[96:97], s[6:7], v[66:67]
	v_mul_f64 v[84:85], v[104:105], s[22:23]
	v_fma_f64 v[88:89], v[96:97], s[26:27], v[198:199]
	v_fma_f64 v[86:87], v[94:95], s[50:51], v[174:175]
	v_add_f64 v[52:53], v[68:69], v[52:53]
	v_mul_f64 v[68:69], v[104:105], s[48:49]
	v_add_f64 v[26:27], v[54:55], v[26:27]
	v_add_f64 v[24:25], v[62:63], v[24:25]
	v_mul_f64 v[54:55], v[108:109], s[34:35]
	v_mul_f64 v[62:63], v[108:109], s[10:11]
	v_fma_f64 v[104:105], v[94:95], s[54:55], v[60:61]
	v_add_f64 v[64:65], v[64:65], v[44:45]
	v_add_f64 v[58:59], v[66:67], v[58:59]
	v_fma_f64 v[66:67], v[94:95], s[22:23], v[80:81]
	v_fma_f64 v[102:103], v[98:99], s[26:27], -v[84:85]
	v_fma_f64 v[80:81], v[94:95], s[46:47], v[80:81]
	v_fma_f64 v[84:85], v[98:99], s[26:27], v[84:85]
	v_add_f64 v[56:57], v[88:89], v[56:57]
	v_add_f64 v[88:89], v[90:91], v[34:35]
	;; [unrolled: 1-line block ×4, first 2 shown]
	v_fma_f64 v[108:109], v[98:99], s[10:11], -v[68:69]
	v_add_f64 v[26:27], v[70:71], v[26:27]
	v_add_f64 v[24:25], v[74:75], v[24:25]
	v_fma_f64 v[70:71], v[98:99], s[6:7], -v[72:73]
	v_fma_f64 v[96:97], v[94:95], s[30:31], v[54:55]
	v_fma_f64 v[74:75], v[98:99], s[34:35], -v[76:77]
	v_fma_f64 v[44:45], v[94:95], s[48:49], v[62:63]
	v_fma_f64 v[62:63], v[94:95], s[8:9], v[62:63]
	;; [unrolled: 1-line block ×7, first 2 shown]
	v_add_f64 v[54:55], v[80:81], v[78:79]
	v_add_f64 v[52:53], v[84:85], v[58:59]
	;; [unrolled: 1-line block ×15, first 2 shown]
	v_mul_lo_u16 v0, v239, 17
	v_add_f64 v[58:59], v[62:63], v[82:83]
	v_add_f64 v[56:57], v[68:69], v[56:57]
	;; [unrolled: 1-line block ×4, first 2 shown]
	v_and_b32_e32 v0, 0xffff, v0
	v_add_f64 v[66:67], v[94:95], v[92:93]
	v_add_f64 v[64:65], v[72:73], v[98:99]
	v_add_lshl_u32 v0, v202, v0, 4
	ds_write_b128 v0, v[8:11]
	ds_write_b128 v0, v[32:35] offset:16
	ds_write_b128 v0, v[36:39] offset:32
	;; [unrolled: 1-line block ×16, first 2 shown]
.LBB0_7:
	s_or_b32 exec_lo, exec_lo, s33
	v_add_nc_u32_e32 v72, 0xcc, v239
	v_mov_b32_e32 v1, 0xf0f1
	v_and_b32_e32 v0, 0xff, v239
	v_add_nc_u16 v2, v239, 0x44
	v_add_nc_u16 v73, v239, 0x88
	s_load_dwordx4 s[4:7], s[2:3], 0x0
	v_mul_u32_u24_sdwa v82, v72, v1 dst_sel:DWORD dst_unused:UNUSED_PAD src0_sel:WORD_0 src1_sel:DWORD
	v_mul_lo_u16 v0, 0xf1, v0
	v_and_b32_e32 v1, 0xff, v2
	v_and_b32_e32 v83, 0xff, v73
	s_waitcnt lgkmcnt(0)
	v_lshrrev_b32_e32 v75, 20, v82
	v_lshrrev_b16 v77, 12, v0
	v_mul_lo_u16 v0, 0xf1, v1
	v_mul_lo_u16 v4, 0xf1, v83
	s_barrier
	v_mul_lo_u16 v3, v75, 17
	v_mul_lo_u16 v1, v77, 17
	v_lshrrev_b16 v80, 12, v0
	v_lshrrev_b16 v81, 12, v4
	buffer_gl0_inv
	v_sub_nc_u16 v79, v72, v3
	v_sub_nc_u16 v0, v239, v1
	v_mul_lo_u16 v1, v80, 17
	v_mul_lo_u16 v4, v81, 17
	v_add_lshl_u32 v240, v202, v239, 4
	v_mul_lo_u16 v3, v79, 48
	v_and_b32_e32 v74, 0xff, v0
	v_sub_nc_u16 v2, v2, v1
	v_sub_nc_u16 v6, v73, v4
	v_lshrrev_b32_e32 v82, 22, v82
	v_and_b32_e32 v3, 0xffff, v3
	v_mad_u64_u32 v[0:1], null, v74, 48, s[0:1]
	v_and_b32_e32 v76, 0xff, v2
	v_and_b32_e32 v78, 0xff, v6
	v_add_co_u32 v2, s2, s0, v3
	v_add_co_ci_u32_e64 v3, null, s1, 0, s2
	v_mad_u64_u32 v[4:5], null, v76, 48, s[0:1]
	s_clause 0x4
	global_load_dwordx4 v[156:159], v[0:1], off offset:16
	global_load_dwordx4 v[28:31], v[0:1], off
	global_load_dwordx4 v[160:163], v[0:1], off offset:32
	global_load_dwordx4 v[24:27], v[2:3], off offset:32
	;; [unrolled: 1-line block ×3, first 2 shown]
	v_mad_u64_u32 v[0:1], null, v78, 48, s[0:1]
	s_clause 0x6
	global_load_dwordx4 v[48:51], v[4:5], off
	global_load_dwordx4 v[44:47], v[4:5], off offset:16
	global_load_dwordx4 v[36:39], v[4:5], off offset:32
	global_load_dwordx4 v[32:35], v[0:1], off
	global_load_dwordx4 v[168:171], v[0:1], off offset:16
	global_load_dwordx4 v[164:167], v[0:1], off offset:32
	global_load_dwordx4 v[40:43], v[2:3], off
	ds_read_b128 v[68:71], v240 offset:4352
	ds_read_b128 v[84:87], v240 offset:8704
	;; [unrolled: 1-line block ×10, first 2 shown]
	ds_read_b128 v[64:67], v240
	ds_read_b128 v[60:63], v240 offset:1088
	ds_read_b128 v[120:123], v240 offset:6528
	;; [unrolled: 1-line block ×5, first 2 shown]
	v_mul_lo_u16 v83, 0x79, v83
	v_lshl_add_u32 v246, v239, 4, v217
	v_lshrrev_b16 v83, 13, v83
	s_waitcnt vmcnt(11) lgkmcnt(14)
	v_mul_f64 v[4:5], v[86:87], v[158:159]
	s_waitcnt vmcnt(9) lgkmcnt(13)
	v_mul_f64 v[8:9], v[90:91], v[162:163]
	;; [unrolled: 2-line block ×3, first 2 shown]
	s_waitcnt lgkmcnt(11)
	v_mul_f64 v[16:17], v[98:99], v[26:27]
	s_waitcnt vmcnt(6) lgkmcnt(9)
	v_mul_f64 v[20:21], v[106:107], v[50:51]
	v_mul_f64 v[6:7], v[84:85], v[158:159]
	s_waitcnt vmcnt(2)
	v_mul_f64 v[140:141], v[102:103], v[170:171]
	s_waitcnt vmcnt(1) lgkmcnt(8)
	v_mul_f64 v[144:145], v[110:111], v[166:167]
	v_mul_f64 v[10:11], v[88:89], v[162:163]
	;; [unrolled: 1-line block ×9, first 2 shown]
	s_waitcnt lgkmcnt(7)
	v_mul_f64 v[128:129], v[114:115], v[46:47]
	v_mul_f64 v[130:131], v[112:113], v[46:47]
	s_waitcnt lgkmcnt(6)
	v_mul_f64 v[132:133], v[118:119], v[38:39]
	v_mul_f64 v[134:135], v[116:117], v[38:39]
	;; [unrolled: 3-line block ×3, first 2 shown]
	v_fma_f64 v[4:5], v[84:85], v[156:157], -v[4:5]
	buffer_store_dword v156, off, s[60:63], 0 offset:36 ; 4-byte Folded Spill
	buffer_store_dword v157, off, s[60:63], 0 offset:40 ; 4-byte Folded Spill
	buffer_store_dword v158, off, s[60:63], 0 offset:44 ; 4-byte Folded Spill
	buffer_store_dword v159, off, s[60:63], 0 offset:48 ; 4-byte Folded Spill
	v_fma_f64 v[8:9], v[88:89], v[160:161], -v[8:9]
	buffer_store_dword v160, off, s[60:63], 0 offset:52 ; 4-byte Folded Spill
	buffer_store_dword v161, off, s[60:63], 0 offset:56 ; 4-byte Folded Spill
	buffer_store_dword v162, off, s[60:63], 0 offset:60 ; 4-byte Folded Spill
	buffer_store_dword v163, off, s[60:63], 0 offset:64 ; 4-byte Folded Spill
	;; [unrolled: 5-line block ×3, first 2 shown]
	v_fma_f64 v[20:21], v[104:105], v[48:49], -v[20:21]
	v_fma_f64 v[100:101], v[100:101], v[168:169], -v[140:141]
	buffer_store_dword v168, off, s[60:63], 0 offset:84 ; 4-byte Folded Spill
	buffer_store_dword v169, off, s[60:63], 0 offset:88 ; 4-byte Folded Spill
	buffer_store_dword v170, off, s[60:63], 0 offset:92 ; 4-byte Folded Spill
	buffer_store_dword v171, off, s[60:63], 0 offset:96 ; 4-byte Folded Spill
	v_fma_f64 v[104:105], v[108:109], v[164:165], -v[144:145]
	buffer_store_dword v164, off, s[60:63], 0 offset:68 ; 4-byte Folded Spill
	buffer_store_dword v165, off, s[60:63], 0 offset:72 ; 4-byte Folded Spill
	buffer_store_dword v166, off, s[60:63], 0 offset:76 ; 4-byte Folded Spill
	buffer_store_dword v167, off, s[60:63], 0 offset:80 ; 4-byte Folded Spill
	v_fma_f64 v[16:17], v[96:97], v[24:25], -v[16:17]
	buffer_store_dword v24, off, s[60:63], 0 offset:4 ; 4-byte Folded Spill
	buffer_store_dword v25, off, s[60:63], 0 offset:8 ; 4-byte Folded Spill
	buffer_store_dword v26, off, s[60:63], 0 offset:12 ; 4-byte Folded Spill
	buffer_store_dword v27, off, s[60:63], 0 offset:16 ; 4-byte Folded Spill
	s_waitcnt vmcnt(0) lgkmcnt(0)
	v_mul_f64 v[148:149], v[126:127], v[42:43]
	v_mul_f64 v[150:151], v[124:125], v[42:43]
	v_fma_f64 v[0:1], v[68:69], v[28:29], -v[0:1]
	v_fma_f64 v[2:3], v[70:71], v[28:29], v[2:3]
	v_fma_f64 v[22:23], v[106:107], v[48:49], v[22:23]
	v_fma_f64 v[84:85], v[112:113], v[44:45], -v[128:129]
	v_fma_f64 v[88:89], v[116:117], v[36:37], -v[132:133]
	;; [unrolled: 1-line block ×3, first 2 shown]
	s_waitcnt_vscnt null, 0x0
	v_add_f64 v[68:69], v[64:65], -v[4:5]
	s_barrier
	buffer_gl0_inv
	v_add_f64 v[12:13], v[52:53], -v[12:13]
	v_add_f64 v[108:109], v[56:57], -v[100:101]
	v_fma_f64 v[96:97], v[124:125], v[40:41], -v[148:149]
	v_mul_lo_u16 v124, 0x44, v83
	v_add_f64 v[4:5], v[0:1], -v[8:9]
	v_add_f64 v[8:9], v[60:61], -v[84:85]
	;; [unrolled: 1-line block ×3, first 2 shown]
	v_mov_b32_e32 v88, 0x44
	v_mul_u32_u24_sdwa v77, v77, v88 dst_sel:DWORD dst_unused:UNUSED_PAD src0_sel:WORD_0 src1_sel:DWORD
	v_fma_f64 v[112:113], v[56:57], 2.0, -v[108:109]
	v_add_f64 v[16:17], v[96:97], -v[16:17]
	v_fma_f64 v[0:1], v[0:1], 2.0, -v[4:5]
	v_fma_f64 v[20:21], v[20:21], 2.0, -v[84:85]
	v_fma_f64 v[6:7], v[86:87], v[156:157], v[6:7]
	v_fma_f64 v[86:87], v[114:115], v[44:45], v[130:131]
	;; [unrolled: 1-line block ×6, first 2 shown]
	v_fma_f64 v[118:119], v[52:53], 2.0, -v[12:13]
	v_fma_f64 v[102:103], v[102:103], v[168:169], v[142:143]
	v_mul_lo_u16 v52, 0x44, v82
	v_fma_f64 v[106:107], v[110:111], v[164:165], v[146:147]
	v_mad_u64_u32 v[122:123], null, v239, 48, s[0:1]
	v_fma_f64 v[18:19], v[98:99], v[24:25], v[18:19]
	v_fma_f64 v[98:99], v[126:127], v[40:41], v[150:151]
	v_lshlrev_b32_e32 v24, 4, v239
	v_add_f64 v[70:71], v[66:67], -v[6:7]
	v_add_f64 v[6:7], v[2:3], -v[10:11]
	v_add_f64 v[10:11], v[62:63], -v[86:87]
	v_add_f64 v[86:87], v[22:23], -v[90:91]
	v_add_f64 v[89:90], v[92:93], -v[104:105]
	v_add_f64 v[14:15], v[54:55], -v[14:15]
	v_add_f64 v[114:115], v[58:59], -v[102:103]
	v_fma_f64 v[102:103], v[64:65], 2.0, -v[68:69]
	v_add_f64 v[100:101], v[94:95], -v[106:107]
	v_fma_f64 v[106:107], v[60:61], 2.0, -v[8:9]
	v_add_f64 v[18:19], v[98:99], -v[18:19]
	v_fma_f64 v[104:105], v[66:67], 2.0, -v[70:71]
	v_fma_f64 v[2:3], v[2:3], 2.0, -v[6:7]
	;; [unrolled: 1-line block ×7, first 2 shown]
	v_add_f64 v[60:61], v[102:103], -v[0:1]
	v_fma_f64 v[91:92], v[94:95], 2.0, -v[100:101]
	v_fma_f64 v[93:94], v[96:97], 2.0, -v[16:17]
	v_add_f64 v[64:65], v[108:109], -v[100:101]
	v_add_f64 v[54:55], v[70:71], v[4:5]
	v_fma_f64 v[96:97], v[98:99], 2.0, -v[18:19]
	v_mul_u32_u24_sdwa v98, v80, v88 dst_sel:DWORD dst_unused:UNUSED_PAD src0_sel:WORD_0 src1_sel:DWORD
	v_mul_u32_u24_sdwa v99, v81, v88 dst_sel:DWORD dst_unused:UNUSED_PAD src0_sel:WORD_0 src1_sel:DWORD
	v_sub_nc_u16 v88, v72, v52
	v_mad_u16 v72, 0x44, v75, v79
	v_add_f64 v[79:80], v[106:107], -v[20:21]
	v_add_f64 v[52:53], v[68:69], -v[6:7]
	;; [unrolled: 1-line block ×3, first 2 shown]
	v_add_f64 v[58:59], v[10:11], v[84:85]
	v_add_nc_u32_e32 v4, v98, v76
	v_add_nc_u32_e32 v5, v99, v78
	v_add_f64 v[62:63], v[104:105], -v[2:3]
	v_sub_nc_u16 v0, v73, v124
	v_add_f64 v[81:82], v[110:111], -v[22:23]
	v_add_f64 v[83:84], v[112:113], -v[66:67]
	v_add_f64 v[66:67], v[114:115], v[89:90]
	v_add_nc_u32_e32 v1, v77, v74
	v_fma_f64 v[98:99], v[102:103], 2.0, -v[60:61]
	v_add_f64 v[85:86], v[116:117], -v[91:92]
	v_add_f64 v[94:95], v[118:119], -v[93:94]
	;; [unrolled: 1-line block ×3, first 2 shown]
	v_add_f64 v[92:93], v[14:15], v[16:17]
	v_add_f64 v[96:97], v[120:121], -v[96:97]
	v_fma_f64 v[102:103], v[108:109], 2.0, -v[64:65]
	v_and_b32_e32 v3, 0xffff, v72
	v_fma_f64 v[70:71], v[70:71], 2.0, -v[54:55]
	v_and_b32_e32 v89, 0xff, v0
	v_fma_f64 v[106:107], v[106:107], 2.0, -v[79:80]
	v_fma_f64 v[68:69], v[68:69], 2.0, -v[52:53]
	;; [unrolled: 1-line block ×4, first 2 shown]
	v_add_lshl_u32 v6, v202, v1, 4
	v_add_lshl_u32 v0, v202, v3, 4
	v_fma_f64 v[100:101], v[104:105], 2.0, -v[62:63]
	v_add_lshl_u32 v3, v202, v4, 4
	v_fma_f64 v[108:109], v[110:111], 2.0, -v[81:82]
	v_fma_f64 v[110:111], v[112:113], 2.0, -v[83:84]
	;; [unrolled: 1-line block ×3, first 2 shown]
	v_add_lshl_u32 v1, v202, v5, 4
	v_mul_lo_u16 v2, v88, 48
	v_fma_f64 v[112:113], v[116:117], 2.0, -v[85:86]
	v_fma_f64 v[118:119], v[118:119], 2.0, -v[94:95]
	;; [unrolled: 1-line block ×5, first 2 shown]
	ds_write_b128 v6, v[52:55] offset:816
	ds_write_b128 v6, v[68:71] offset:272
	ds_write_b128 v6, v[60:63] offset:544
	buffer_store_dword v6, off, s[60:63], 0 offset:112 ; 4-byte Folded Spill
	ds_write_b128 v6, v[98:101]
	ds_write_b128 v3, v[72:75] offset:272
	ds_write_b128 v3, v[79:82] offset:544
	;; [unrolled: 1-line block ×3, first 2 shown]
	buffer_store_dword v3, off, s[60:63], 0 offset:108 ; 4-byte Folded Spill
	ds_write_b128 v3, v[106:109]
	ds_write_b128 v1, v[110:113]
	ds_write_b128 v1, v[102:105] offset:272
	ds_write_b128 v1, v[83:86] offset:544
	buffer_store_dword v1, off, s[60:63], 0 offset:104 ; 4-byte Folded Spill
	ds_write_b128 v1, v[64:67] offset:816
	ds_write_b128 v0, v[118:121]
	ds_write_b128 v0, v[114:117] offset:272
	ds_write_b128 v0, v[94:97] offset:544
	buffer_store_dword v0, off, s[60:63], 0 offset:100 ; 4-byte Folded Spill
	ds_write_b128 v0, v[90:93] offset:816
	v_mad_u64_u32 v[0:1], null, v89, 48, s[0:1]
	v_and_b32_e32 v2, 0xffff, v2
	s_waitcnt lgkmcnt(0)
	s_waitcnt_vscnt null, 0x0
	s_barrier
	buffer_gl0_inv
	s_clause 0x2
	global_load_dwordx4 v[68:71], v[122:123], off offset:816
	global_load_dwordx4 v[64:67], v[122:123], off offset:832
	;; [unrolled: 1-line block ×3, first 2 shown]
	v_add_co_u32 v2, s2, s0, v2
	global_load_dwordx4 v[60:63], v[0:1], off offset:816
	v_add_co_ci_u32_e64 v3, null, s1, 0, s2
	s_clause 0x4
	global_load_dwordx4 v[72:75], v[0:1], off offset:832
	global_load_dwordx4 v[56:59], v[0:1], off offset:848
	;; [unrolled: 1-line block ×5, first 2 shown]
	ds_read_b128 v[90:93], v240 offset:4352
	ds_read_b128 v[94:97], v240 offset:8704
	;; [unrolled: 1-line block ×6, first 2 shown]
	ds_read_b128 v[114:117], v240
	ds_read_b128 v[118:121], v240 offset:1088
	ds_read_b128 v[122:125], v240 offset:6528
	ds_read_b128 v[126:129], v240 offset:10880
	ds_read_b128 v[130:133], v240 offset:15232
	ds_read_b128 v[134:137], v240 offset:2176
	ds_read_b128 v[138:141], v240 offset:3264
	ds_read_b128 v[142:145], v240 offset:7616
	ds_read_b128 v[146:149], v240 offset:11968
	ds_read_b128 v[150:153], v240 offset:16320
	buffer_store_dword v202, off, s[60:63], 0 ; 4-byte Folded Spill
	v_add_lshl_u32 v245, v202, v89, 4
	s_waitcnt vmcnt(0) lgkmcnt(0)
	s_waitcnt_vscnt null, 0x0
	s_barrier
	buffer_gl0_inv
	v_mul_f64 v[4:5], v[96:97], v[66:67]
	v_mul_f64 v[0:1], v[92:93], v[70:71]
	;; [unrolled: 1-line block ×24, first 2 shown]
	v_fma_f64 v[0:1], v[90:91], v[68:69], -v[0:1]
	v_fma_f64 v[2:3], v[92:93], v[68:69], v[2:3]
	v_fma_f64 v[4:5], v[94:95], v[64:65], -v[4:5]
	v_fma_f64 v[6:7], v[96:97], v[64:65], v[6:7]
	;; [unrolled: 2-line block ×12, first 2 shown]
	v_add_f64 v[4:5], v[114:115], -v[4:5]
	v_add_f64 v[6:7], v[116:117], -v[6:7]
	;; [unrolled: 1-line block ×16, first 2 shown]
	v_fma_f64 v[146:147], v[114:115], 2.0, -v[4:5]
	v_fma_f64 v[148:149], v[116:117], 2.0, -v[6:7]
	;; [unrolled: 1-line block ×8, first 2 shown]
	v_add_f64 v[94:95], v[16:17], -v[22:23]
	v_add_f64 v[96:97], v[18:19], v[20:21]
	v_fma_f64 v[156:157], v[134:135], 2.0, -v[142:143]
	v_fma_f64 v[158:159], v[136:137], 2.0, -v[144:145]
	;; [unrolled: 1-line block ×4, first 2 shown]
	v_add_f64 v[90:91], v[4:5], -v[10:11]
	v_add_f64 v[92:93], v[6:7], v[8:9]
	v_fma_f64 v[160:161], v[138:139], 2.0, -v[150:151]
	v_fma_f64 v[162:163], v[140:141], 2.0, -v[152:153]
	v_fma_f64 v[124:125], v[102:103], 2.0, -v[106:107]
	v_fma_f64 v[126:127], v[104:105], 2.0, -v[108:109]
	v_add_f64 v[102:103], v[150:151], -v[108:109]
	v_add_f64 v[104:105], v[152:153], v[106:107]
	v_add_f64 v[106:107], v[146:147], -v[0:1]
	v_add_f64 v[108:109], v[148:149], -v[2:3]
	;; [unrolled: 1-line block ×3, first 2 shown]
	v_add_f64 v[100:101], v[144:145], v[122:123]
	v_add_co_u32 v120, s0, s0, v24
	v_add_f64 v[110:111], v[118:119], -v[12:13]
	v_add_f64 v[112:113], v[154:155], -v[14:15]
	v_fma_f64 v[130:131], v[16:17], 2.0, -v[94:95]
	v_fma_f64 v[132:133], v[18:19], 2.0, -v[96:97]
	v_add_co_ci_u32_e64 v121, null, s1, 0, s0
	v_add_f64 v[114:115], v[156:157], -v[114:115]
	v_add_f64 v[116:117], v[158:159], -v[116:117]
	v_add_co_u32 v0, s0, 0x800, v120
	v_fma_f64 v[128:129], v[6:7], 2.0, -v[92:93]
	v_add_co_ci_u32_e64 v1, s0, 0, v121, s0
	v_add_f64 v[122:123], v[160:161], -v[124:125]
	v_add_f64 v[124:125], v[162:163], -v[126:127]
	v_fma_f64 v[126:127], v[4:5], 2.0, -v[90:91]
	v_fma_f64 v[138:139], v[146:147], 2.0, -v[106:107]
	;; [unrolled: 1-line block ×9, first 2 shown]
	v_add_co_u32 v2, s0, 0x1000, v120
	v_add_co_ci_u32_e64 v3, s0, 0, v121, s0
	v_fma_f64 v[146:147], v[156:157], 2.0, -v[114:115]
	v_fma_f64 v[148:149], v[158:159], 2.0, -v[116:117]
	v_and_b32_e32 v8, 0xffff, v88
	v_add_co_u32 v4, s0, 0x1800, v120
	v_add_co_ci_u32_e64 v5, s0, 0, v121, s0
	v_fma_f64 v[154:155], v[160:161], 2.0, -v[122:123]
	v_fma_f64 v[156:157], v[162:163], 2.0, -v[124:125]
	v_add_lshl_u32 v253, v202, v8, 4
	ds_write_b128 v240, v[90:93] offset:3264
	ds_write_b128 v240, v[94:97] offset:7616
	;; [unrolled: 1-line block ×6, first 2 shown]
	ds_write_b128 v240, v[138:141]
	ds_write_b128 v240, v[142:145] offset:4352
	ds_write_b128 v245, v[146:149] offset:8704
	;; [unrolled: 1-line block ×9, first 2 shown]
	s_waitcnt lgkmcnt(0)
	s_barrier
	buffer_gl0_inv
	s_clause 0x3
	global_load_dwordx4 v[92:95], v[0:1], off offset:2032
	global_load_dwordx4 v[88:91], v[2:3], off offset:1072
	;; [unrolled: 1-line block ×4, first 2 shown]
	ds_read_b128 v[104:107], v240 offset:8704
	ds_read_b128 v[108:111], v240 offset:9792
	ds_read_b128 v[112:115], v240 offset:10880
	ds_read_b128 v[116:119], v240 offset:11968
	ds_read_b128 v[122:125], v240 offset:13056
	ds_read_b128 v[126:129], v240 offset:14144
	ds_read_b128 v[130:133], v240 offset:15232
	ds_read_b128 v[134:137], v240 offset:16320
	ds_read_b128 v[138:141], v240
	ds_read_b128 v[142:145], v240 offset:1088
	ds_read_b128 v[146:149], v240 offset:2176
	;; [unrolled: 1-line block ×5, first 2 shown]
	s_waitcnt vmcnt(3) lgkmcnt(13)
	v_mul_f64 v[0:1], v[106:107], v[94:95]
	v_mul_f64 v[2:3], v[104:105], v[94:95]
	s_waitcnt vmcnt(2) lgkmcnt(12)
	v_mul_f64 v[4:5], v[110:111], v[90:91]
	v_mul_f64 v[6:7], v[108:109], v[90:91]
	;; [unrolled: 3-line block ×4, first 2 shown]
	s_waitcnt lgkmcnt(9)
	v_mul_f64 v[16:17], v[124:125], v[94:95]
	v_mul_f64 v[18:19], v[122:123], v[94:95]
	s_waitcnt lgkmcnt(8)
	v_mul_f64 v[20:21], v[128:129], v[90:91]
	v_mul_f64 v[22:23], v[126:127], v[90:91]
	;; [unrolled: 3-line block ×4, first 2 shown]
	v_fma_f64 v[0:1], v[104:105], v[92:93], -v[0:1]
	v_fma_f64 v[2:3], v[106:107], v[92:93], v[2:3]
	v_fma_f64 v[4:5], v[108:109], v[88:89], -v[4:5]
	v_fma_f64 v[6:7], v[110:111], v[88:89], v[6:7]
	;; [unrolled: 2-line block ×8, first 2 shown]
	ds_read_b128 v[104:107], v240 offset:6528
	ds_read_b128 v[108:111], v240 offset:7616
	s_waitcnt lgkmcnt(0)
	s_barrier
	buffer_gl0_inv
	v_add_f64 v[112:113], v[138:139], -v[0:1]
	v_add_f64 v[114:115], v[140:141], -v[2:3]
	;; [unrolled: 1-line block ×12, first 2 shown]
	v_add_co_u32 v0, s0, 0x2000, v120
	v_add_f64 v[162:163], v[104:105], -v[162:163]
	v_add_f64 v[164:165], v[106:107], -v[164:165]
	;; [unrolled: 1-line block ×4, first 2 shown]
	v_add_co_ci_u32_e64 v1, s0, 0, v121, s0
	v_add_co_u32 v2, s0, 0x2800, v120
	v_fma_f64 v[138:139], v[138:139], 2.0, -v[112:113]
	v_fma_f64 v[140:141], v[140:141], 2.0, -v[114:115]
	;; [unrolled: 1-line block ×12, first 2 shown]
	v_add_co_ci_u32_e64 v3, s0, 0, v121, s0
	v_fma_f64 v[104:105], v[104:105], 2.0, -v[162:163]
	v_fma_f64 v[106:107], v[106:107], 2.0, -v[164:165]
	;; [unrolled: 1-line block ×4, first 2 shown]
	v_add_co_u32 v4, s0, 0x3000, v120
	v_add_co_ci_u32_e64 v5, s0, 0, v121, s0
	ds_write_b128 v240, v[112:115] offset:4352
	ds_write_b128 v240, v[116:119] offset:5440
	;; [unrolled: 1-line block ×8, first 2 shown]
	ds_write_b128 v240, v[138:141]
	ds_write_b128 v240, v[142:145] offset:1088
	ds_write_b128 v240, v[146:149] offset:2176
	;; [unrolled: 1-line block ×7, first 2 shown]
	s_waitcnt lgkmcnt(0)
	s_barrier
	buffer_gl0_inv
	s_clause 0x3
	global_load_dwordx4 v[116:119], v[0:1], off offset:240
	global_load_dwordx4 v[112:115], v[0:1], off offset:1328
	;; [unrolled: 1-line block ×4, first 2 shown]
	v_add_co_u32 v0, s0, 0x3800, v120
	v_add_co_ci_u32_e64 v1, s0, 0, v121, s0
	s_clause 0x3
	global_load_dwordx4 v[124:127], v[4:5], off offset:496
	global_load_dwordx4 v[120:123], v[4:5], off offset:1584
	global_load_dwordx4 v[128:131], v[0:1], off offset:624
	global_load_dwordx4 v[132:135], v[0:1], off offset:1712
	ds_read_b128 v[136:139], v240 offset:8704
	ds_read_b128 v[140:143], v240 offset:9792
	;; [unrolled: 1-line block ×8, first 2 shown]
	ds_read_b128 v[176:179], v240
	ds_read_b128 v[184:187], v240 offset:1088
	ds_read_b128 v[196:199], v240 offset:2176
	;; [unrolled: 1-line block ×6, first 2 shown]
	s_waitcnt vmcnt(7) lgkmcnt(14)
	v_mul_f64 v[0:1], v[138:139], v[118:119]
	v_mul_f64 v[2:3], v[136:137], v[118:119]
	s_waitcnt vmcnt(6) lgkmcnt(13)
	v_mul_f64 v[4:5], v[142:143], v[114:115]
	v_mul_f64 v[6:7], v[140:141], v[114:115]
	;; [unrolled: 3-line block ×8, first 2 shown]
	v_fma_f64 v[0:1], v[136:137], v[116:117], -v[0:1]
	v_fma_f64 v[2:3], v[138:139], v[116:117], v[2:3]
	v_fma_f64 v[4:5], v[140:141], v[112:113], -v[4:5]
	v_fma_f64 v[6:7], v[142:143], v[112:113], v[6:7]
	;; [unrolled: 2-line block ×8, first 2 shown]
	ds_read_b128 v[144:147], v240 offset:6528
	s_waitcnt lgkmcnt(7)
	v_add_f64 v[188:189], v[176:177], -v[0:1]
	v_add_f64 v[190:191], v[178:179], -v[2:3]
	s_waitcnt lgkmcnt(6)
	v_add_f64 v[172:173], v[184:185], -v[4:5]
	v_add_f64 v[174:175], v[186:187], -v[6:7]
	s_waitcnt lgkmcnt(5)
	v_add_f64 v[160:161], v[196:197], -v[8:9]
	v_add_f64 v[162:163], v[198:199], -v[10:11]
	s_waitcnt lgkmcnt(4)
	v_add_f64 v[168:169], v[200:201], -v[12:13]
	v_add_f64 v[170:171], v[202:203], -v[14:15]
	s_waitcnt lgkmcnt(3)
	v_add_f64 v[180:181], v[204:205], -v[16:17]
	v_add_f64 v[182:183], v[206:207], -v[18:19]
	s_waitcnt lgkmcnt(2)
	v_add_f64 v[156:157], v[209:210], -v[20:21]
	v_add_f64 v[158:159], v[211:212], -v[22:23]
	s_waitcnt lgkmcnt(0)
	v_add_f64 v[148:149], v[144:145], -v[136:137]
	v_add_f64 v[150:151], v[146:147], -v[138:139]
	v_add_f64 v[140:141], v[213:214], -v[140:141]
	v_add_f64 v[142:143], v[215:216], -v[142:143]
	v_fma_f64 v[136:137], v[176:177], 2.0, -v[188:189]
	v_fma_f64 v[138:139], v[178:179], 2.0, -v[190:191]
	;; [unrolled: 1-line block ×12, first 2 shown]
	v_add_nc_u32_e32 v209, v24, v217
	v_fma_f64 v[152:153], v[144:145], 2.0, -v[148:149]
	v_fma_f64 v[154:155], v[146:147], 2.0, -v[150:151]
	;; [unrolled: 1-line block ×4, first 2 shown]
	ds_write_b128 v246, v[188:191] offset:8704
	ds_write_b128 v246, v[172:175] offset:9792
	;; [unrolled: 1-line block ×6, first 2 shown]
	ds_write_b128 v246, v[136:139]
	ds_write_b128 v246, v[192:195] offset:1088
	ds_write_b128 v246, v[176:179] offset:2176
	;; [unrolled: 1-line block ×9, first 2 shown]
	s_waitcnt lgkmcnt(0)
	s_barrier
	buffer_gl0_inv
	s_and_saveexec_b32 s2, vcc_lo
	s_cbranch_execz .LBB0_9
; %bb.8:
	s_add_u32 s0, s12, 0x4400
	s_addc_u32 s1, s13, 0
	v_or_b32_e32 v0, 0x800, v254
	s_clause 0x2
	global_load_dwordx4 v[200:203], v254, s[0:1]
	global_load_dwordx4 v[204:207], v254, s[0:1] offset:1024
	global_load_dwordx4 v[210:213], v0, s[0:1]
	ds_read_b128 v[241:244], v248
	v_or_b32_e32 v0, 0xc00, v254
	v_mov_b32_e32 v238, v217
	v_mov_b32_e32 v24, v218
	;; [unrolled: 1-line block ×4, first 2 shown]
	global_load_dwordx4 v[214:217], v0, s[0:1]
	v_mov_b32_e32 v27, v221
	v_mov_b32_e32 v247, v254
	s_waitcnt vmcnt(3) lgkmcnt(0)
	v_mul_f64 v[4:5], v[243:244], v[202:203]
	v_mul_f64 v[6:7], v[241:242], v[202:203]
	v_fma_f64 v[241:242], v[241:242], v[200:201], -v[4:5]
	v_or_b32_e32 v4, 0x2c00, v254
	v_fma_f64 v[243:244], v[243:244], v[200:201], v[6:7]
	global_load_dwordx4 v[4:7], v4, s[0:1]
	v_or_b32_e32 v0, 0x1000, v254
	global_load_dwordx4 v[218:221], v0, s[0:1]
	ds_write_b128 v248, v[241:244]
	ds_read_b128 v[200:203], v246 offset:1024
	ds_read_b128 v[241:244], v246 offset:2048
	;; [unrolled: 1-line block ×3, first 2 shown]
	s_waitcnt vmcnt(4) lgkmcnt(2)
	v_mul_f64 v[12:13], v[202:203], v[206:207]
	v_mul_f64 v[14:15], v[200:201], v[206:207]
	s_waitcnt vmcnt(3) lgkmcnt(1)
	v_mul_f64 v[16:17], v[243:244], v[212:213]
	v_mul_f64 v[18:19], v[241:242], v[212:213]
	v_fma_f64 v[200:201], v[200:201], v[204:205], -v[12:13]
	v_fma_f64 v[202:203], v[202:203], v[204:205], v[14:15]
	ds_read_b128 v[12:15], v246 offset:4096
	v_fma_f64 v[204:205], v[241:242], v[210:211], -v[16:17]
	v_or_b32_e32 v16, 0x3000, v254
	v_fma_f64 v[206:207], v[243:244], v[210:211], v[18:19]
	s_waitcnt vmcnt(2) lgkmcnt(1)
	v_mul_f64 v[20:21], v[10:11], v[216:217]
	v_mul_f64 v[22:23], v[8:9], v[216:217]
	ds_read_b128 v[241:244], v246 offset:5120
	global_load_dwordx4 v[210:213], v16, s[0:1]
	v_or_b32_e32 v0, 0x1400, v254
	global_load_dwordx4 v[222:225], v0, s[0:1]
	v_fma_f64 v[8:9], v[8:9], v[214:215], -v[20:21]
	v_fma_f64 v[10:11], v[10:11], v[214:215], v[22:23]
	ds_read_b128 v[214:217], v246 offset:6144
	s_waitcnt vmcnt(2) lgkmcnt(2)
	v_mul_f64 v[16:17], v[14:15], v[220:221]
	v_mul_f64 v[18:19], v[12:13], v[220:221]
	v_fma_f64 v[12:13], v[12:13], v[218:219], -v[16:17]
	v_or_b32_e32 v16, 0x3400, v254
	v_fma_f64 v[14:15], v[14:15], v[218:219], v[18:19]
	global_load_dwordx4 v[218:221], v16, s[0:1]
	v_or_b32_e32 v0, 0x1800, v254
	global_load_dwordx4 v[226:229], v0, s[0:1]
	v_or_b32_e32 v0, 0x1c00, v254
	global_load_dwordx4 v[230:233], v0, s[0:1]
	s_waitcnt vmcnt(3) lgkmcnt(1)
	v_mul_f64 v[20:21], v[243:244], v[224:225]
	v_mul_f64 v[22:23], v[241:242], v[224:225]
	v_fma_f64 v[241:242], v[241:242], v[222:223], -v[20:21]
	v_fma_f64 v[243:244], v[243:244], v[222:223], v[22:23]
	ds_read_b128 v[222:225], v246 offset:7168
	s_waitcnt vmcnt(1) lgkmcnt(1)
	v_mul_f64 v[16:17], v[216:217], v[228:229]
	v_mul_f64 v[18:19], v[214:215], v[228:229]
	v_fma_f64 v[214:215], v[214:215], v[226:227], -v[16:17]
	v_or_b32_e32 v16, 0x3800, v254
	v_fma_f64 v[216:217], v[216:217], v[226:227], v[18:19]
	global_load_dwordx4 v[226:229], v16, s[0:1]
	v_or_b32_e32 v0, 0x2000, v254
	s_waitcnt vmcnt(1) lgkmcnt(0)
	v_mul_f64 v[16:17], v[224:225], v[232:233]
	v_mul_f64 v[18:19], v[222:223], v[232:233]
	global_load_dwordx4 v[234:237], v0, s[0:1]
	v_or_b32_e32 v0, 0x2400, v254
	global_load_dwordx4 v[249:252], v0, s[0:1]
	v_or_b32_e32 v0, 0x2800, v254
	global_load_dwordx4 v[0:3], v0, s[0:1]
	v_fma_f64 v[222:223], v[222:223], v[230:231], -v[16:17]
	v_fma_f64 v[224:225], v[224:225], v[230:231], v[18:19]
	ds_read_b128 v[230:233], v246 offset:8192
	s_waitcnt vmcnt(2) lgkmcnt(0)
	v_mul_f64 v[16:17], v[232:233], v[236:237]
	v_mul_f64 v[18:19], v[230:231], v[236:237]
	v_fma_f64 v[230:231], v[230:231], v[234:235], -v[16:17]
	v_fma_f64 v[232:233], v[232:233], v[234:235], v[18:19]
	ds_read_b128 v[234:237], v246 offset:9216
	s_waitcnt vmcnt(1) lgkmcnt(0)
	v_mul_f64 v[16:17], v[236:237], v[251:252]
	v_mul_f64 v[18:19], v[234:235], v[251:252]
	;; [unrolled: 6-line block ×3, first 2 shown]
	v_fma_f64 v[249:250], v[249:250], v[0:1], -v[16:17]
	v_fma_f64 v[251:252], v[251:252], v[0:1], v[2:3]
	ds_read_b128 v[0:3], v246 offset:11264
	s_waitcnt lgkmcnt(0)
	v_mul_f64 v[16:17], v[2:3], v[6:7]
	v_mul_f64 v[6:7], v[0:1], v[6:7]
	v_fma_f64 v[0:1], v[0:1], v[4:5], -v[16:17]
	v_fma_f64 v[2:3], v[2:3], v[4:5], v[6:7]
	ds_read_b128 v[4:7], v246 offset:12288
	s_waitcnt lgkmcnt(0)
	v_mul_f64 v[16:17], v[6:7], v[212:213]
	v_mul_f64 v[18:19], v[4:5], v[212:213]
	;; [unrolled: 6-line block ×4, first 2 shown]
	v_fma_f64 v[218:219], v[218:219], v[226:227], -v[16:17]
	v_or_b32_e32 v16, 0x3c00, v254
	v_fma_f64 v[220:221], v[220:221], v[226:227], v[18:19]
	global_load_dwordx4 v[226:229], v16, s[0:1]
	ds_read_b128 v[16:19], v246 offset:15360
	s_waitcnt vmcnt(0) lgkmcnt(0)
	v_mul_f64 v[20:21], v[18:19], v[228:229]
	v_mul_f64 v[22:23], v[16:17], v[228:229]
	v_fma_f64 v[16:17], v[16:17], v[226:227], -v[20:21]
	v_or_b32_e32 v20, 0x4000, v254
	v_fma_f64 v[18:19], v[18:19], v[226:227], v[22:23]
	global_load_dwordx4 v[226:229], v20, s[0:1]
	ds_read_b128 v[20:23], v246 offset:16384
	ds_write_b128 v246, v[200:203] offset:1024
	ds_write_b128 v246, v[204:207] offset:2048
	;; [unrolled: 1-line block ×14, first 2 shown]
	v_mov_b32_e32 v221, v27
	v_mov_b32_e32 v217, v238
	;; [unrolled: 1-line block ×5, first 2 shown]
	s_waitcnt vmcnt(0) lgkmcnt(14)
	v_mul_f64 v[254:255], v[22:23], v[228:229]
	v_mul_f64 v[228:229], v[20:21], v[228:229]
	v_fma_f64 v[20:21], v[20:21], v[226:227], -v[254:255]
	v_fma_f64 v[22:23], v[22:23], v[226:227], v[228:229]
	v_mov_b32_e32 v254, v247
	ds_write_b128 v246, v[16:19] offset:15360
	ds_write_b128 v246, v[20:23] offset:16384
.LBB0_9:
	s_or_b32 exec_lo, exec_lo, s2
	s_waitcnt lgkmcnt(0)
	s_barrier
	buffer_gl0_inv
	s_and_saveexec_b32 s0, vcc_lo
	s_cbranch_execz .LBB0_11
; %bb.10:
	ds_read_b128 v[136:139], v248
	ds_read_b128 v[188:191], v246 offset:1024
	ds_read_b128 v[192:195], v246 offset:2048
	;; [unrolled: 1-line block ×16, first 2 shown]
.LBB0_11:
	s_or_b32 exec_lo, exec_lo, s0
	v_add_nc_u32_e32 v207, 0x1980, v209
	v_add_nc_u32_e32 v206, 0x1dc0, v209
	s_waitcnt lgkmcnt(0)
	s_barrier
	buffer_gl0_inv
	s_and_saveexec_b32 s33, vcc_lo
	s_cbranch_execz .LBB0_13
; %bb.12:
	v_add_f64 v[0:1], v[138:139], v[190:191]
	v_add_f64 v[2:3], v[136:137], v[188:189]
	v_add_f64 v[237:238], v[188:189], -v[218:219]
	s_mov_b32 s0, 0xacd6c6b4
	s_mov_b32 s1, 0xbfc7851a
	v_add_f64 v[225:226], v[190:191], -v[220:221]
	v_add_f64 v[209:210], v[192:193], -v[140:141]
	v_add_f64 v[235:236], v[220:221], v[190:191]
	s_mov_b32 s8, 0x5d8e7cdc
	s_mov_b32 s2, 0x7faef3
	;; [unrolled: 1-line block ×4, first 2 shown]
	v_mov_b32_e32 v24, v218
	buffer_store_dword v206, off, s[60:63], 0 offset:116 ; 4-byte Folded Spill
	buffer_store_dword v207, off, s[60:63], 0 offset:120 ; 4-byte Folded Spill
	v_add_f64 v[206:207], v[194:195], -v[142:143]
	v_add_f64 v[233:234], v[218:219], v[188:189]
	v_add_f64 v[215:216], v[172:173], -v[144:145]
	v_mov_b32_e32 v25, v219
	v_mov_b32_e32 v26, v220
	;; [unrolled: 1-line block ×3, first 2 shown]
	v_add_f64 v[219:220], v[142:143], v[194:195]
	s_mov_b32 s18, 0x4363dd80
	v_add_f64 v[0:1], v[194:195], v[0:1]
	v_add_f64 v[2:3], v[192:193], v[2:3]
	v_mul_f64 v[4:5], v[237:238], s[0:1]
	s_mov_b32 s10, 0x370991
	s_mov_b32 s19, 0xbfe0d888
	v_mul_f64 v[6:7], v[225:226], s[0:1]
	v_mul_f64 v[8:9], v[209:210], s[8:9]
	s_mov_b32 s11, 0x3fedd6d0
	v_add_f64 v[213:214], v[174:175], -v[146:147]
	buffer_store_dword v217, off, s[60:63], 0 offset:124 ; 4-byte Folded Spill
	v_add_f64 v[217:218], v[140:141], v[192:193]
	v_add_f64 v[194:195], v[176:177], -v[148:149]
	v_add_f64 v[223:224], v[174:175], v[146:147]
	s_mov_b32 s16, 0x910ea3b9
	v_mul_f64 v[12:13], v[206:207], s[8:9]
	s_mov_b32 s20, 0x2a9d6da3
	v_mul_f64 v[16:17], v[215:216], s[18:19]
	s_mov_b32 s17, 0xbfeb34fa
	s_mov_b32 s21, 0x3fe58eea
	v_add_f64 v[190:191], v[196:197], -v[180:181]
	v_add_f64 v[188:189], v[198:199], v[182:183]
	v_add_f64 v[202:203], v[158:159], v[186:187]
	;; [unrolled: 1-line block ×4, first 2 shown]
	v_fma_f64 v[10:11], v[235:236], s[2:3], v[4:5]
	v_fma_f64 v[4:5], v[235:236], s[2:3], -v[4:5]
	v_add_f64 v[211:212], v[160:161], -v[152:153]
	v_fma_f64 v[14:15], v[233:234], s[2:3], -v[6:7]
	v_fma_f64 v[6:7], v[233:234], s[2:3], v[6:7]
	v_fma_f64 v[20:21], v[219:220], s[10:11], v[8:9]
	v_add_f64 v[221:222], v[172:173], v[144:145]
	v_add_f64 v[174:175], v[198:199], -v[182:183]
	v_add_f64 v[172:173], v[196:197], v[180:181]
	v_mul_f64 v[18:19], v[213:214], s[18:19]
	v_fma_f64 v[8:9], v[219:220], s[10:11], -v[8:9]
	v_add_f64 v[231:232], v[178:179], v[150:151]
	v_fma_f64 v[22:23], v[217:218], s[10:11], -v[12:13]
	v_fma_f64 v[12:13], v[217:218], s[10:11], v[12:13]
	s_mov_b32 s28, 0x6c9a05f6
	s_mov_b32 s22, 0x75d4884
	;; [unrolled: 1-line block ×4, first 2 shown]
	v_add_f64 v[204:205], v[184:185], -v[156:157]
	v_add_f64 v[192:193], v[154:155], v[162:163]
	v_add_f64 v[0:1], v[178:179], v[0:1]
	;; [unrolled: 1-line block ×5, first 2 shown]
	v_add_f64 v[227:228], v[162:163], -v[154:155]
	v_add_f64 v[14:15], v[136:137], v[14:15]
	v_add_f64 v[6:7], v[136:137], v[6:7]
	;; [unrolled: 1-line block ×3, first 2 shown]
	s_mov_b32 s30, 0x7c9e640b
	s_mov_b32 s24, 0x6ed5f1bb
	;; [unrolled: 1-line block ×4, first 2 shown]
	v_add_f64 v[200:201], v[168:169], -v[164:165]
	s_mov_b32 s26, 0x2b2883cd
	s_mov_b32 s38, 0x923c349f
	s_mov_b32 s27, 0x3fdc86fa
	s_mov_b32 s39, 0xbfeec746
	s_mov_b32 s48, 0xeb564b22
	s_mov_b32 s36, 0xc61f0d01
	s_mov_b32 s49, 0x3fefdd0d
	s_mov_b32 s37, 0xbfd183b1
	v_add_f64 v[176:177], v[168:169], v[164:165]
	v_add_f64 v[0:1], v[162:163], v[0:1]
	v_add_f64 v[2:3], v[160:161], v[2:3]
	v_add_f64 v[10:11], v[20:21], v[10:11]
	v_fma_f64 v[20:21], v[223:224], s[16:17], v[16:17]
	v_add_f64 v[4:5], v[8:9], v[4:5]
	v_add_f64 v[14:15], v[22:23], v[14:15]
	v_fma_f64 v[22:23], v[221:222], s[16:17], -v[18:19]
	v_fma_f64 v[16:17], v[223:224], s[16:17], -v[16:17]
	v_add_f64 v[6:7], v[12:13], v[6:7]
	v_mul_f64 v[12:13], v[211:212], s[28:29]
	v_fma_f64 v[18:19], v[221:222], s[16:17], v[18:19]
	s_mov_b32 s34, 0x3259b75e
	s_mov_b32 s35, 0x3fb79ee6
	v_mul_f64 v[241:242], v[225:226], s[18:19]
	v_mul_f64 v[243:244], v[209:210], s[30:31]
	s_mov_b32 s41, 0xbfefdd0d
	s_mov_b32 s40, s48
	;; [unrolled: 1-line block ×7, first 2 shown]
	v_add_f64 v[0:1], v[186:187], v[0:1]
	v_add_f64 v[2:3], v[184:185], v[2:3]
	s_mov_b32 s42, s38
	v_add_f64 v[10:11], v[20:21], v[10:11]
	s_mov_b32 s51, 0xbfe58eea
	s_mov_b32 s50, s20
	v_add_f64 v[14:15], v[22:23], v[14:15]
	v_add_f64 v[4:5], v[16:17], v[4:5]
	v_mul_f64 v[16:17], v[227:228], s[28:29]
	s_mov_b32 s53, 0xbfeca52d
	v_add_f64 v[6:7], v[18:19], v[6:7]
	v_mul_f64 v[18:19], v[204:205], s[30:31]
	s_mov_b32 s52, s30
	s_mov_b32 s55, 0x3fe0d888
	;; [unrolled: 1-line block ×3, first 2 shown]
	v_add_f64 v[0:1], v[170:171], v[0:1]
	v_add_f64 v[2:3], v[168:169], v[2:3]
	;; [unrolled: 1-line block ×4, first 2 shown]
	v_add_f64 v[196:197], v[178:179], -v[150:151]
	v_add_f64 v[198:199], v[186:187], -v[158:159]
	v_add_f64 v[186:187], v[152:153], v[160:161]
	v_mul_f64 v[160:161], v[194:195], s[20:21]
	v_add_f64 v[178:179], v[170:171], v[166:167]
	v_add_f64 v[0:1], v[182:183], v[0:1]
	;; [unrolled: 1-line block ×3, first 2 shown]
	v_mul_f64 v[8:9], v[196:197], s[20:21]
	v_add_f64 v[180:181], v[170:171], -v[166:167]
	v_add_f64 v[182:183], v[156:157], v[184:185]
	v_fma_f64 v[20:21], v[231:232], s[22:23], v[160:161]
	v_fma_f64 v[160:161], v[231:232], s[22:23], -v[160:161]
	v_mul_f64 v[184:185], v[237:238], s[18:19]
	v_mul_f64 v[251:252], v[198:199], s[0:1]
	v_add_f64 v[0:1], v[166:167], v[0:1]
	v_add_f64 v[2:3], v[164:165], v[2:3]
	v_fma_f64 v[22:23], v[229:230], s[22:23], -v[8:9]
	v_fma_f64 v[8:9], v[229:230], s[22:23], v[8:9]
	v_mul_f64 v[249:250], v[180:181], s[20:21]
	v_add_f64 v[10:11], v[20:21], v[10:11]
	v_fma_f64 v[20:21], v[192:193], s[24:25], v[12:13]
	v_add_f64 v[4:5], v[160:161], v[4:5]
	v_mul_f64 v[160:161], v[198:199], s[30:31]
	v_fma_f64 v[12:13], v[192:193], s[24:25], -v[12:13]
	v_add_f64 v[0:1], v[158:159], v[0:1]
	v_add_f64 v[2:3], v[156:157], v[2:3]
	;; [unrolled: 1-line block ×3, first 2 shown]
	v_fma_f64 v[22:23], v[186:187], s[24:25], -v[16:17]
	v_add_f64 v[6:7], v[8:9], v[6:7]
	v_mul_f64 v[8:9], v[200:201], s[38:39]
	v_fma_f64 v[16:17], v[186:187], s[24:25], v[16:17]
	v_add_f64 v[10:11], v[20:21], v[10:11]
	v_fma_f64 v[20:21], v[202:203], s[26:27], v[18:19]
	v_add_f64 v[4:5], v[12:13], v[4:5]
	v_mul_f64 v[12:13], v[180:181], s[38:39]
	v_fma_f64 v[18:19], v[202:203], s[26:27], -v[18:19]
	v_add_f64 v[0:1], v[154:155], v[0:1]
	v_add_f64 v[2:3], v[152:153], v[2:3]
	;; [unrolled: 1-line block ×3, first 2 shown]
	v_fma_f64 v[22:23], v[182:183], s[26:27], -v[160:161]
	v_fma_f64 v[160:161], v[182:183], s[26:27], v[160:161]
	v_add_f64 v[6:7], v[16:17], v[6:7]
	v_mul_f64 v[16:17], v[190:191], s[48:49]
	v_add_f64 v[10:11], v[20:21], v[10:11]
	v_fma_f64 v[20:21], v[178:179], s[36:37], v[8:9]
	v_fma_f64 v[8:9], v[178:179], s[36:37], -v[8:9]
	v_add_f64 v[4:5], v[18:19], v[4:5]
	v_mul_f64 v[18:19], v[174:175], s[48:49]
	v_add_f64 v[0:1], v[150:151], v[0:1]
	v_add_f64 v[2:3], v[148:149], v[2:3]
	;; [unrolled: 1-line block ×3, first 2 shown]
	v_fma_f64 v[22:23], v[176:177], s[36:37], -v[12:13]
	v_add_f64 v[6:7], v[160:161], v[6:7]
	v_fma_f64 v[12:13], v[176:177], s[36:37], v[12:13]
	v_add_f64 v[10:11], v[20:21], v[10:11]
	v_fma_f64 v[20:21], v[188:189], s[34:35], v[16:17]
	v_add_f64 v[4:5], v[8:9], v[4:5]
	v_mul_f64 v[8:9], v[206:207], s[30:31]
	v_fma_f64 v[16:17], v[188:189], s[34:35], -v[16:17]
	v_add_f64 v[0:1], v[146:147], v[0:1]
	v_add_f64 v[2:3], v[144:145], v[2:3]
	v_mul_f64 v[144:145], v[225:226], s[38:39]
	v_mul_f64 v[146:147], v[225:226], s[40:41]
	v_add_f64 v[14:15], v[22:23], v[14:15]
	v_fma_f64 v[22:23], v[172:173], s[34:35], -v[18:19]
	v_fma_f64 v[18:19], v[172:173], s[34:35], v[18:19]
	v_add_f64 v[6:7], v[12:13], v[6:7]
	v_fma_f64 v[12:13], v[235:236], s[16:17], v[184:185]
	v_add_f64 v[162:163], v[20:21], v[10:11]
	v_fma_f64 v[10:11], v[233:234], s[16:17], -v[241:242]
	v_add_f64 v[166:167], v[16:17], v[4:5]
	v_fma_f64 v[4:5], v[219:220], s[26:27], v[243:244]
	v_add_f64 v[0:1], v[142:143], v[0:1]
	v_add_f64 v[160:161], v[22:23], v[14:15]
	v_mul_f64 v[14:15], v[215:216], s[40:41]
	v_add_f64 v[164:165], v[18:19], v[6:7]
	v_add_f64 v[6:7], v[138:139], v[12:13]
	v_fma_f64 v[12:13], v[217:218], s[26:27], -v[8:9]
	v_add_f64 v[10:11], v[136:137], v[10:11]
	v_fma_f64 v[8:9], v[217:218], s[26:27], v[8:9]
	buffer_store_dword v160, off, s[60:63], 0 offset:128 ; 4-byte Folded Spill
	buffer_store_dword v161, off, s[60:63], 0 offset:132 ; 4-byte Folded Spill
	;; [unrolled: 1-line block ×4, first 2 shown]
	v_mov_b32_e32 v162, v254
	v_mul_f64 v[254:255], v[200:201], s[20:21]
	v_add_f64 v[4:5], v[4:5], v[6:7]
	v_fma_f64 v[6:7], v[223:224], s[34:35], v[14:15]
	v_add_f64 v[10:11], v[12:13], v[10:11]
	v_mul_f64 v[12:13], v[213:214], s[40:41]
	v_mov_b32_e32 v160, v248
	v_mul_f64 v[247:248], v[190:191], s[38:39]
	v_fma_f64 v[14:15], v[223:224], s[34:35], -v[14:15]
	v_add_f64 v[4:5], v[6:7], v[4:5]
	v_fma_f64 v[6:7], v[221:222], s[34:35], -v[12:13]
	v_add_f64 v[6:7], v[6:7], v[10:11]
	v_mul_f64 v[10:11], v[194:195], s[46:47]
	v_fma_f64 v[16:17], v[231:232], s[24:25], v[10:11]
	v_fma_f64 v[10:11], v[231:232], s[24:25], -v[10:11]
	v_add_f64 v[4:5], v[16:17], v[4:5]
	v_mul_f64 v[16:17], v[196:197], s[46:47]
	v_fma_f64 v[18:19], v[229:230], s[24:25], -v[16:17]
	v_add_f64 v[6:7], v[18:19], v[6:7]
	v_mul_f64 v[18:19], v[211:212], s[44:45]
	v_fma_f64 v[20:21], v[192:193], s[10:11], v[18:19]
	v_add_f64 v[4:5], v[20:21], v[4:5]
	v_mul_f64 v[20:21], v[227:228], s[44:45]
	v_fma_f64 v[22:23], v[186:187], s[10:11], -v[20:21]
	v_add_f64 v[6:7], v[22:23], v[6:7]
	v_mul_f64 v[22:23], v[204:205], s[0:1]
	v_fma_f64 v[168:169], v[202:203], s[2:3], v[22:23]
	v_add_f64 v[4:5], v[168:169], v[4:5]
	v_fma_f64 v[168:169], v[182:183], s[2:3], -v[251:252]
	v_add_f64 v[6:7], v[168:169], v[6:7]
	v_fma_f64 v[168:169], v[178:179], s[22:23], v[254:255]
	v_add_f64 v[4:5], v[168:169], v[4:5]
	v_fma_f64 v[168:169], v[176:177], s[22:23], -v[249:250]
	v_add_f64 v[6:7], v[168:169], v[6:7]
	v_fma_f64 v[168:169], v[188:189], s[36:37], v[247:248]
	v_add_f64 v[170:171], v[168:169], v[4:5]
	v_mul_f64 v[4:5], v[174:175], s[38:39]
	v_fma_f64 v[168:169], v[172:173], s[36:37], -v[4:5]
	v_fma_f64 v[4:5], v[172:173], s[36:37], v[4:5]
	v_add_f64 v[168:169], v[168:169], v[6:7]
	v_fma_f64 v[6:7], v[235:236], s[16:17], -v[184:185]
	v_fma_f64 v[184:185], v[219:220], s[26:27], -v[243:244]
	v_add_f64 v[6:7], v[138:139], v[6:7]
	v_add_f64 v[6:7], v[184:185], v[6:7]
	v_mul_f64 v[184:185], v[225:226], s[52:53]
	v_add_f64 v[6:7], v[14:15], v[6:7]
	v_fma_f64 v[14:15], v[176:177], s[22:23], v[249:250]
	v_fma_f64 v[243:244], v[233:234], s[26:27], -v[184:185]
	v_fma_f64 v[184:185], v[233:234], s[26:27], v[184:185]
	v_add_f64 v[6:7], v[10:11], v[6:7]
	v_fma_f64 v[10:11], v[233:234], s[16:17], v[241:242]
	v_fma_f64 v[241:242], v[233:234], s[34:35], -v[146:147]
	v_fma_f64 v[146:147], v[233:234], s[34:35], v[146:147]
	v_add_f64 v[184:185], v[136:137], v[184:185]
	v_add_f64 v[10:11], v[136:137], v[10:11]
	;; [unrolled: 1-line block ×4, first 2 shown]
	v_fma_f64 v[10:11], v[192:193], s[10:11], -v[18:19]
	v_add_f64 v[6:7], v[10:11], v[6:7]
	v_fma_f64 v[10:11], v[221:222], s[34:35], v[12:13]
	v_fma_f64 v[12:13], v[178:179], s[22:23], -v[254:255]
	v_add_f64 v[8:9], v[10:11], v[8:9]
	v_fma_f64 v[10:11], v[202:203], s[2:3], -v[22:23]
	v_add_f64 v[6:7], v[10:11], v[6:7]
	v_fma_f64 v[10:11], v[229:230], s[24:25], v[16:17]
	v_fma_f64 v[16:17], v[188:189], s[36:37], -v[247:248]
	v_add_f64 v[6:7], v[12:13], v[6:7]
	v_add_f64 v[8:9], v[10:11], v[8:9]
	v_fma_f64 v[10:11], v[186:187], s[10:11], v[20:21]
	v_mul_f64 v[12:13], v[225:226], s[28:29]
	v_mul_f64 v[20:21], v[206:207], s[42:43]
	v_add_f64 v[158:159], v[16:17], v[6:7]
	v_add_f64 v[8:9], v[10:11], v[8:9]
	v_fma_f64 v[10:11], v[182:183], s[2:3], v[251:252]
	v_fma_f64 v[16:17], v[217:218], s[36:37], -v[20:21]
	v_fma_f64 v[20:21], v[217:218], s[36:37], v[20:21]
	v_add_f64 v[8:9], v[10:11], v[8:9]
	v_mul_f64 v[10:11], v[237:238], s[28:29]
	v_add_f64 v[8:9], v[14:15], v[8:9]
	v_mul_f64 v[14:15], v[209:210], s[42:43]
	v_fma_f64 v[18:19], v[235:236], s[24:25], v[10:11]
	v_add_f64 v[156:157], v[4:5], v[8:9]
	v_fma_f64 v[4:5], v[233:234], s[24:25], -v[12:13]
	v_fma_f64 v[6:7], v[219:220], s[36:37], v[14:15]
	v_fma_f64 v[8:9], v[235:236], s[24:25], -v[10:11]
	v_fma_f64 v[10:11], v[233:234], s[24:25], v[12:13]
	v_add_f64 v[12:13], v[138:139], v[18:19]
	v_mul_f64 v[18:19], v[215:216], s[44:45]
	v_fma_f64 v[14:15], v[219:220], s[36:37], -v[14:15]
	v_add_f64 v[4:5], v[136:137], v[4:5]
	v_add_f64 v[8:9], v[138:139], v[8:9]
	;; [unrolled: 1-line block ×4, first 2 shown]
	v_mul_f64 v[12:13], v[213:214], s[44:45]
	v_add_f64 v[4:5], v[16:17], v[4:5]
	v_fma_f64 v[16:17], v[223:224], s[10:11], v[18:19]
	v_add_f64 v[8:9], v[14:15], v[8:9]
	v_mul_f64 v[14:15], v[194:195], s[18:19]
	v_add_f64 v[10:11], v[20:21], v[10:11]
	v_fma_f64 v[20:21], v[221:222], s[10:11], -v[12:13]
	v_fma_f64 v[18:19], v[223:224], s[10:11], -v[18:19]
	v_fma_f64 v[12:13], v[221:222], s[10:11], v[12:13]
	v_add_f64 v[6:7], v[16:17], v[6:7]
	v_mul_f64 v[16:17], v[196:197], s[18:19]
	v_add_f64 v[4:5], v[20:21], v[4:5]
	v_fma_f64 v[20:21], v[231:232], s[16:17], v[14:15]
	v_add_f64 v[8:9], v[18:19], v[8:9]
	v_add_f64 v[10:11], v[12:13], v[10:11]
	v_mul_f64 v[12:13], v[211:212], s[48:49]
	v_fma_f64 v[14:15], v[231:232], s[16:17], -v[14:15]
	v_fma_f64 v[18:19], v[229:230], s[16:17], -v[16:17]
	v_fma_f64 v[16:17], v[229:230], s[16:17], v[16:17]
	v_add_f64 v[6:7], v[20:21], v[6:7]
	v_mul_f64 v[20:21], v[227:228], s[48:49]
	v_add_f64 v[8:9], v[14:15], v[8:9]
	v_mul_f64 v[14:15], v[204:205], s[50:51]
	v_add_f64 v[4:5], v[18:19], v[4:5]
	v_fma_f64 v[18:19], v[192:193], s[34:35], v[12:13]
	v_add_f64 v[10:11], v[16:17], v[10:11]
	v_fma_f64 v[12:13], v[192:193], s[34:35], -v[12:13]
	v_fma_f64 v[16:17], v[186:187], s[34:35], -v[20:21]
	v_fma_f64 v[20:21], v[186:187], s[34:35], v[20:21]
	v_add_f64 v[6:7], v[18:19], v[6:7]
	v_mul_f64 v[18:19], v[198:199], s[50:51]
	v_add_f64 v[8:9], v[12:13], v[8:9]
	v_add_f64 v[4:5], v[16:17], v[4:5]
	v_fma_f64 v[16:17], v[202:203], s[22:23], v[14:15]
	v_add_f64 v[10:11], v[20:21], v[10:11]
	v_mul_f64 v[20:21], v[200:201], s[0:1]
	v_fma_f64 v[14:15], v[202:203], s[22:23], -v[14:15]
	v_fma_f64 v[12:13], v[182:183], s[22:23], -v[18:19]
	v_fma_f64 v[18:19], v[182:183], s[22:23], v[18:19]
	v_add_f64 v[6:7], v[16:17], v[6:7]
	v_mul_f64 v[16:17], v[180:181], s[0:1]
	v_add_f64 v[8:9], v[14:15], v[8:9]
	v_mul_f64 v[14:15], v[190:191], s[30:31]
	v_add_f64 v[4:5], v[12:13], v[4:5]
	v_fma_f64 v[12:13], v[178:179], s[2:3], v[20:21]
	v_add_f64 v[10:11], v[18:19], v[10:11]
	v_fma_f64 v[20:21], v[178:179], s[2:3], -v[20:21]
	v_fma_f64 v[18:19], v[176:177], s[2:3], -v[16:17]
	v_fma_f64 v[16:17], v[176:177], s[2:3], v[16:17]
	v_add_f64 v[6:7], v[12:13], v[6:7]
	v_mul_f64 v[12:13], v[174:175], s[30:31]
	v_add_f64 v[8:9], v[20:21], v[8:9]
	v_add_f64 v[4:5], v[18:19], v[4:5]
	v_fma_f64 v[18:19], v[188:189], s[26:27], v[14:15]
	v_add_f64 v[10:11], v[16:17], v[10:11]
	v_mul_f64 v[16:17], v[237:238], s[38:39]
	v_fma_f64 v[14:15], v[188:189], s[26:27], -v[14:15]
	v_fma_f64 v[20:21], v[172:173], s[26:27], -v[12:13]
	v_fma_f64 v[12:13], v[172:173], s[26:27], v[12:13]
	v_add_f64 v[154:155], v[18:19], v[6:7]
	v_mul_f64 v[6:7], v[237:238], s[52:53]
	v_mul_f64 v[18:19], v[237:238], s[50:51]
	v_fma_f64 v[22:23], v[235:236], s[36:37], v[16:17]
	v_fma_f64 v[16:17], v[235:236], s[36:37], -v[16:17]
	v_add_f64 v[150:151], v[14:15], v[8:9]
	v_add_f64 v[152:153], v[20:21], v[4:5]
	v_mul_f64 v[4:5], v[237:238], s[40:41]
	v_mul_f64 v[20:21], v[237:238], s[44:45]
	v_add_f64 v[148:149], v[12:13], v[10:11]
	v_fma_f64 v[237:238], v[233:234], s[36:37], -v[144:145]
	v_fma_f64 v[10:11], v[235:236], s[26:27], v[6:7]
	v_fma_f64 v[6:7], v[235:236], s[26:27], -v[6:7]
	v_fma_f64 v[12:13], v[235:236], s[22:23], -v[18:19]
	v_fma_f64 v[18:19], v[235:236], s[22:23], v[18:19]
	v_fma_f64 v[144:145], v[233:234], s[36:37], v[144:145]
	v_add_f64 v[22:23], v[138:139], v[22:23]
	v_add_f64 v[16:17], v[138:139], v[16:17]
	v_fma_f64 v[8:9], v[235:236], s[34:35], v[4:5]
	v_fma_f64 v[4:5], v[235:236], s[34:35], -v[4:5]
	v_fma_f64 v[14:15], v[235:236], s[10:11], -v[20:21]
	v_fma_f64 v[20:21], v[235:236], s[10:11], v[20:21]
	v_mul_f64 v[235:236], v[225:226], s[50:51]
	v_mul_f64 v[225:226], v[225:226], s[44:45]
	v_add_f64 v[10:11], v[138:139], v[10:11]
	v_add_f64 v[6:7], v[138:139], v[6:7]
	;; [unrolled: 1-line block ×9, first 2 shown]
	v_fma_f64 v[247:248], v[233:234], s[22:23], v[235:236]
	v_fma_f64 v[249:250], v[233:234], s[10:11], v[225:226]
	v_fma_f64 v[235:236], v[233:234], s[22:23], -v[235:236]
	v_fma_f64 v[225:226], v[233:234], s[10:11], -v[225:226]
	v_add_f64 v[233:234], v[136:137], v[237:238]
	v_add_f64 v[237:238], v[136:137], v[241:242]
	;; [unrolled: 1-line block ×6, first 2 shown]
	v_mul_f64 v[2:3], v[209:210], s[54:55]
	v_add_f64 v[235:236], v[136:137], v[235:236]
	v_add_f64 v[138:139], v[136:137], v[225:226]
	v_fma_f64 v[136:137], v[219:220], s[16:17], v[2:3]
	v_fma_f64 v[2:3], v[219:220], s[16:17], -v[2:3]
	v_add_f64 v[22:23], v[136:137], v[22:23]
	v_add_f64 v[2:3], v[2:3], v[16:17]
	v_mul_f64 v[16:17], v[215:216], s[20:21]
	v_fma_f64 v[136:137], v[223:224], s[22:23], v[16:17]
	v_fma_f64 v[16:17], v[223:224], s[22:23], -v[16:17]
	v_add_f64 v[22:23], v[136:137], v[22:23]
	v_add_f64 v[2:3], v[16:17], v[2:3]
	v_mul_f64 v[16:17], v[194:195], s[52:53]
	v_mul_f64 v[136:137], v[206:207], s[54:55]
	v_fma_f64 v[142:143], v[231:232], s[26:27], v[16:17]
	v_fma_f64 v[140:141], v[217:218], s[16:17], -v[136:137]
	v_fma_f64 v[16:17], v[231:232], s[26:27], -v[16:17]
	v_add_f64 v[22:23], v[142:143], v[22:23]
	v_mul_f64 v[142:143], v[213:214], s[20:21]
	v_add_f64 v[140:141], v[140:141], v[233:234]
	v_add_f64 v[2:3], v[16:17], v[2:3]
	v_mul_f64 v[16:17], v[211:212], s[0:1]
	v_fma_f64 v[225:226], v[221:222], s[22:23], -v[142:143]
	v_add_f64 v[140:141], v[225:226], v[140:141]
	v_fma_f64 v[225:226], v[192:193], s[2:3], v[16:17]
	v_fma_f64 v[16:17], v[192:193], s[2:3], -v[16:17]
	v_add_f64 v[22:23], v[225:226], v[22:23]
	v_mul_f64 v[225:226], v[196:197], s[52:53]
	v_add_f64 v[2:3], v[16:17], v[2:3]
	v_mul_f64 v[16:17], v[204:205], s[48:49]
	v_fma_f64 v[233:234], v[229:230], s[26:27], -v[225:226]
	v_fma_f64 v[225:226], v[229:230], s[26:27], v[225:226]
	v_add_f64 v[140:141], v[233:234], v[140:141]
	v_fma_f64 v[233:234], v[202:203], s[34:35], v[16:17]
	v_fma_f64 v[16:17], v[202:203], s[34:35], -v[16:17]
	v_add_f64 v[22:23], v[233:234], v[22:23]
	v_add_f64 v[2:3], v[16:17], v[2:3]
	v_fma_f64 v[16:17], v[217:218], s[16:17], v[136:137]
	v_mul_f64 v[136:137], v[200:201], s[44:45]
	v_mul_f64 v[233:234], v[227:228], s[0:1]
	v_add_f64 v[16:17], v[16:17], v[144:145]
	v_fma_f64 v[144:145], v[178:179], s[10:11], v[136:137]
	v_fma_f64 v[251:252], v[186:187], s[2:3], -v[233:234]
	v_fma_f64 v[136:137], v[178:179], s[10:11], -v[136:137]
	v_fma_f64 v[233:234], v[186:187], s[2:3], v[233:234]
	v_add_f64 v[22:23], v[144:145], v[22:23]
	v_mul_f64 v[144:145], v[198:199], s[48:49]
	v_add_f64 v[140:141], v[251:252], v[140:141]
	v_add_f64 v[2:3], v[136:137], v[2:3]
	v_fma_f64 v[136:137], v[221:222], s[22:23], v[142:143]
	v_mul_f64 v[142:143], v[209:210], s[0:1]
	s_mov_b32 s49, 0x3fc7851a
	s_mov_b32 s48, s0
	v_fma_f64 v[251:252], v[182:183], s[34:35], -v[144:145]
	v_fma_f64 v[144:145], v[182:183], s[34:35], v[144:145]
	v_add_f64 v[16:17], v[136:137], v[16:17]
	v_fma_f64 v[136:137], v[219:220], s[2:3], v[142:143]
	v_fma_f64 v[142:143], v[219:220], s[2:3], -v[142:143]
	v_add_f64 v[140:141], v[251:252], v[140:141]
	v_mul_f64 v[251:252], v[180:181], s[44:45]
	v_add_f64 v[16:17], v[225:226], v[16:17]
	v_add_f64 v[8:9], v[136:137], v[8:9]
	;; [unrolled: 1-line block ×3, first 2 shown]
	v_mul_f64 v[142:143], v[215:216], s[42:43]
	v_fma_f64 v[136:137], v[176:177], s[10:11], -v[251:252]
	v_add_f64 v[16:17], v[233:234], v[16:17]
	v_fma_f64 v[225:226], v[223:224], s[36:37], v[142:143]
	v_fma_f64 v[142:143], v[223:224], s[36:37], -v[142:143]
	v_add_f64 v[136:137], v[136:137], v[140:141]
	v_mul_f64 v[140:141], v[206:207], s[0:1]
	v_add_f64 v[16:17], v[144:145], v[16:17]
	v_mul_f64 v[144:145], v[206:207], s[28:29]
	buffer_store_dword v136, off, s[60:63], 0 offset:144 ; 4-byte Folded Spill
	buffer_store_dword v137, off, s[60:63], 0 offset:148 ; 4-byte Folded Spill
	v_fma_f64 v[254:255], v[217:218], s[2:3], -v[140:141]
	v_add_f64 v[4:5], v[142:143], v[4:5]
	v_mul_f64 v[142:143], v[194:195], s[8:9]
	v_fma_f64 v[140:141], v[217:218], s[2:3], v[140:141]
	v_add_f64 v[8:9], v[225:226], v[8:9]
	v_mul_f64 v[225:226], v[213:214], s[42:43]
	v_add_f64 v[237:238], v[254:255], v[237:238]
	v_fma_f64 v[233:234], v[231:232], s[10:11], v[142:143]
	v_add_f64 v[140:141], v[140:141], v[146:147]
	v_mul_f64 v[146:147], v[209:210], s[28:29]
	v_fma_f64 v[254:255], v[221:222], s[36:37], -v[225:226]
	v_fma_f64 v[142:143], v[231:232], s[10:11], -v[142:143]
	v_add_f64 v[8:9], v[233:234], v[8:9]
	v_fma_f64 v[233:234], v[219:220], s[24:25], v[146:147]
	v_fma_f64 v[146:147], v[219:220], s[24:25], -v[146:147]
	v_add_f64 v[237:238], v[254:255], v[237:238]
	v_add_f64 v[4:5], v[142:143], v[4:5]
	v_mul_f64 v[142:143], v[211:212], s[52:53]
	v_add_f64 v[10:11], v[233:234], v[10:11]
	v_mul_f64 v[233:234], v[196:197], s[8:9]
	v_add_f64 v[6:7], v[146:147], v[6:7]
	v_fma_f64 v[146:147], v[221:222], s[36:37], v[225:226]
	v_fma_f64 v[254:255], v[229:230], s[10:11], -v[233:234]
	v_add_f64 v[140:141], v[146:147], v[140:141]
	v_mul_f64 v[146:147], v[215:216], s[48:49]
	v_add_f64 v[237:238], v[254:255], v[237:238]
	v_fma_f64 v[254:255], v[217:218], s[24:25], -v[144:145]
	v_fma_f64 v[225:226], v[223:224], s[2:3], v[146:147]
	v_fma_f64 v[146:147], v[223:224], s[2:3], -v[146:147]
	v_add_f64 v[241:242], v[254:255], v[241:242]
	v_fma_f64 v[254:255], v[192:193], s[26:27], v[142:143]
	v_add_f64 v[10:11], v[225:226], v[10:11]
	v_mul_f64 v[225:226], v[227:228], s[52:53]
	v_fma_f64 v[142:143], v[192:193], s[26:27], -v[142:143]
	v_add_f64 v[6:7], v[146:147], v[6:7]
	v_fma_f64 v[146:147], v[229:230], s[10:11], v[233:234]
	v_mul_f64 v[233:234], v[194:195], s[42:43]
	v_add_f64 v[8:9], v[254:255], v[8:9]
	v_fma_f64 v[254:255], v[186:187], s[26:27], -v[225:226]
	v_add_f64 v[4:5], v[142:143], v[4:5]
	v_mul_f64 v[142:143], v[204:205], s[18:19]
	v_add_f64 v[146:147], v[146:147], v[140:141]
	v_fma_f64 v[140:141], v[231:232], s[36:37], v[233:234]
	v_add_f64 v[237:238], v[254:255], v[237:238]
	v_mul_f64 v[254:255], v[213:214], s[48:49]
	v_add_f64 v[10:11], v[140:141], v[10:11]
	v_fma_f64 v[136:137], v[221:222], s[2:3], -v[254:255]
	v_add_f64 v[136:137], v[136:137], v[241:242]
	v_fma_f64 v[241:242], v[202:203], s[16:17], v[142:143]
	v_add_f64 v[8:9], v[241:242], v[8:9]
	v_mul_f64 v[241:242], v[198:199], s[18:19]
	v_fma_f64 v[140:141], v[182:183], s[16:17], -v[241:242]
	v_add_f64 v[237:238], v[140:141], v[237:238]
	v_fma_f64 v[140:141], v[217:218], s[24:25], v[144:145]
	v_add_f64 v[144:145], v[140:141], v[184:185]
	v_mul_f64 v[184:185], v[196:197], s[42:43]
	v_fma_f64 v[140:141], v[229:230], s[36:37], -v[184:185]
	v_add_f64 v[136:137], v[140:141], v[136:137]
	v_fma_f64 v[140:141], v[202:203], s[16:17], -v[142:143]
	v_add_f64 v[142:143], v[140:141], v[4:5]
	v_fma_f64 v[4:5], v[176:177], s[10:11], v[251:252]
	v_add_f64 v[140:141], v[4:5], v[16:17]
	v_mul_f64 v[16:17], v[200:201], s[46:47]
	v_fma_f64 v[4:5], v[178:179], s[24:25], v[16:17]
	v_fma_f64 v[16:17], v[178:179], s[24:25], -v[16:17]
	v_add_f64 v[4:5], v[4:5], v[8:9]
	v_fma_f64 v[8:9], v[231:232], s[36:37], -v[233:234]
	v_add_f64 v[16:17], v[16:17], v[142:143]
	v_mul_f64 v[233:234], v[180:181], s[46:47]
	v_add_f64 v[6:7], v[8:9], v[6:7]
	v_fma_f64 v[8:9], v[186:187], s[26:27], v[225:226]
	v_add_f64 v[8:9], v[8:9], v[146:147]
	v_mul_f64 v[146:147], v[211:212], s[20:21]
	v_fma_f64 v[142:143], v[192:193], s[22:23], -v[146:147]
	v_fma_f64 v[225:226], v[192:193], s[22:23], v[146:147]
	v_add_f64 v[6:7], v[142:143], v[6:7]
	v_fma_f64 v[142:143], v[182:183], s[16:17], v[241:242]
	v_add_f64 v[10:11], v[225:226], v[10:11]
	v_fma_f64 v[225:226], v[176:177], s[24:25], -v[233:234]
	v_add_f64 v[8:9], v[142:143], v[8:9]
	v_mul_f64 v[142:143], v[204:205], s[44:45]
	v_add_f64 v[225:226], v[225:226], v[237:238]
	v_fma_f64 v[237:238], v[221:222], s[2:3], v[254:255]
	v_mov_b32_e32 v254, v162
	v_fma_f64 v[146:147], v[202:203], s[10:11], v[142:143]
	v_fma_f64 v[142:143], v[202:203], s[10:11], -v[142:143]
	v_add_f64 v[144:145], v[237:238], v[144:145]
	v_mul_f64 v[237:238], v[227:228], s[20:21]
	v_add_f64 v[10:11], v[146:147], v[10:11]
	v_fma_f64 v[146:147], v[229:230], s[36:37], v[184:185]
	v_add_f64 v[6:7], v[142:143], v[6:7]
	v_fma_f64 v[251:252], v[186:187], s[22:23], -v[237:238]
	v_fma_f64 v[142:143], v[186:187], s[22:23], v[237:238]
	v_add_f64 v[144:145], v[146:147], v[144:145]
	v_mul_f64 v[146:147], v[198:199], s[44:45]
	v_add_f64 v[136:137], v[251:252], v[136:137]
	v_add_f64 v[142:143], v[142:143], v[144:145]
	v_fma_f64 v[184:185], v[182:183], s[10:11], -v[146:147]
	v_mul_f64 v[144:145], v[209:210], s[40:41]
	v_fma_f64 v[146:147], v[182:183], s[10:11], v[146:147]
	v_add_f64 v[136:137], v[184:185], v[136:137]
	v_fma_f64 v[184:185], v[219:220], s[34:35], -v[144:145]
	v_fma_f64 v[144:145], v[219:220], s[34:35], v[144:145]
	v_add_f64 v[146:147], v[146:147], v[142:143]
	v_add_f64 v[12:13], v[184:185], v[12:13]
	v_mul_f64 v[184:185], v[209:210], s[50:51]
	v_add_f64 v[18:19], v[144:145], v[18:19]
	v_fma_f64 v[209:210], v[219:220], s[22:23], -v[184:185]
	v_fma_f64 v[184:185], v[219:220], s[22:23], v[184:185]
	v_mul_f64 v[219:220], v[206:207], s[40:41]
	v_mul_f64 v[206:207], v[206:207], s[50:51]
	v_add_f64 v[14:15], v[209:210], v[14:15]
	v_add_f64 v[20:21], v[184:185], v[20:21]
	v_fma_f64 v[237:238], v[217:218], s[34:35], v[219:220]
	v_fma_f64 v[219:220], v[217:218], s[34:35], -v[219:220]
	v_mul_f64 v[184:185], v[213:214], s[28:29]
	v_fma_f64 v[241:242], v[217:218], s[22:23], v[206:207]
	v_mul_f64 v[213:214], v[213:214], s[52:53]
	v_fma_f64 v[206:207], v[217:218], s[22:23], -v[206:207]
	v_add_f64 v[217:218], v[237:238], v[247:248]
	v_add_f64 v[144:145], v[219:220], v[235:236]
	v_mul_f64 v[219:220], v[215:216], s[28:29]
	v_mul_f64 v[215:216], v[215:216], s[52:53]
	v_add_f64 v[209:210], v[241:242], v[243:244]
	v_fma_f64 v[237:238], v[221:222], s[26:27], v[213:214]
	v_fma_f64 v[213:214], v[221:222], s[26:27], -v[213:214]
	v_add_f64 v[138:139], v[206:207], v[138:139]
	v_mov_b32_e32 v248, v160
	v_fma_f64 v[235:236], v[223:224], s[24:25], -v[219:220]
	v_fma_f64 v[219:220], v[223:224], s[24:25], v[219:220]
	v_add_f64 v[206:207], v[237:238], v[209:210]
	v_add_f64 v[138:139], v[213:214], v[138:139]
	v_mul_f64 v[213:214], v[211:212], s[54:55]
	v_mul_f64 v[211:212], v[211:212], s[38:39]
	v_add_f64 v[12:13], v[235:236], v[12:13]
	v_fma_f64 v[235:236], v[223:224], s[26:27], -v[215:216]
	v_fma_f64 v[215:216], v[223:224], s[26:27], v[215:216]
	v_fma_f64 v[223:224], v[221:222], s[24:25], v[184:185]
	v_fma_f64 v[184:185], v[221:222], s[24:25], -v[184:185]
	v_add_f64 v[18:19], v[219:220], v[18:19]
	v_add_f64 v[14:15], v[235:236], v[14:15]
	;; [unrolled: 1-line block ×5, first 2 shown]
	v_mul_f64 v[184:185], v[194:195], s[0:1]
	v_mul_f64 v[194:195], v[194:195], s[40:41]
	;; [unrolled: 1-line block ×4, first 2 shown]
	v_fma_f64 v[223:224], v[176:177], s[24:25], v[233:234]
	v_fma_f64 v[217:218], v[231:232], s[2:3], -v[184:185]
	v_fma_f64 v[184:185], v[231:232], s[2:3], v[184:185]
	v_fma_f64 v[219:220], v[229:230], s[2:3], v[215:216]
	;; [unrolled: 1-line block ×3, first 2 shown]
	v_fma_f64 v[215:216], v[229:230], s[2:3], -v[215:216]
	v_fma_f64 v[196:197], v[229:230], s[34:35], -v[196:197]
	v_add_f64 v[12:13], v[217:218], v[12:13]
	v_fma_f64 v[217:218], v[231:232], s[34:35], -v[194:195]
	v_fma_f64 v[194:195], v[231:232], s[34:35], v[194:195]
	v_add_f64 v[206:207], v[221:222], v[206:207]
	v_add_f64 v[209:210], v[219:220], v[209:210]
	v_mul_f64 v[219:220], v[227:228], s[38:39]
	v_mul_f64 v[221:222], v[227:228], s[54:55]
	v_add_f64 v[18:19], v[184:185], v[18:19]
	v_mul_f64 v[184:185], v[204:205], s[42:43]
	v_add_f64 v[144:145], v[215:216], v[144:145]
	v_fma_f64 v[215:216], v[192:193], s[36:37], -v[211:212]
	v_mul_f64 v[204:205], v[204:205], s[28:29]
	v_add_f64 v[138:139], v[196:197], v[138:139]
	v_mul_f64 v[196:197], v[200:201], s[40:41]
	v_mul_f64 v[231:232], v[174:175], s[0:1]
	;; [unrolled: 1-line block ×3, first 2 shown]
	v_add_f64 v[14:15], v[217:218], v[14:15]
	v_fma_f64 v[217:218], v[192:193], s[16:17], -v[213:214]
	v_fma_f64 v[213:214], v[192:193], s[16:17], v[213:214]
	v_fma_f64 v[192:193], v[192:193], s[36:37], v[211:212]
	v_add_f64 v[20:21], v[194:195], v[20:21]
	v_fma_f64 v[211:212], v[186:187], s[16:17], v[221:222]
	v_mul_f64 v[194:195], v[198:199], s[42:43]
	v_mul_f64 v[198:199], v[198:199], s[28:29]
	v_fma_f64 v[221:222], v[186:187], s[16:17], -v[221:222]
	v_fma_f64 v[235:236], v[172:173], s[16:17], v[227:228]
	v_add_f64 v[14:15], v[215:216], v[14:15]
	v_add_f64 v[12:13], v[217:218], v[12:13]
	v_fma_f64 v[217:218], v[186:187], s[36:37], v[219:220]
	v_fma_f64 v[186:187], v[186:187], s[36:37], -v[219:220]
	v_fma_f64 v[219:220], v[202:203], s[36:37], -v[184:185]
	v_mul_f64 v[215:216], v[200:201], s[30:31]
	v_add_f64 v[209:210], v[211:212], v[209:210]
	v_fma_f64 v[211:212], v[202:203], s[24:25], -v[204:205]
	v_add_f64 v[18:19], v[213:214], v[18:19]
	v_fma_f64 v[213:214], v[182:183], s[24:25], v[198:199]
	v_add_f64 v[144:145], v[221:222], v[144:145]
	v_fma_f64 v[221:222], v[182:183], s[36:37], v[194:195]
	v_fma_f64 v[184:185], v[202:203], s[36:37], v[184:185]
	v_mul_f64 v[200:201], v[200:201], s[18:19]
	v_add_f64 v[20:21], v[192:193], v[20:21]
	v_mul_f64 v[192:193], v[180:181], s[18:19]
	v_fma_f64 v[194:195], v[182:183], s[36:37], -v[194:195]
	v_fma_f64 v[202:203], v[202:203], s[24:25], v[204:205]
	v_mul_f64 v[204:205], v[180:181], s[40:41]
	v_fma_f64 v[182:183], v[182:183], s[24:25], -v[198:199]
	v_mul_f64 v[180:181], v[180:181], s[30:31]
	v_add_f64 v[206:207], v[217:218], v[206:207]
	v_mul_f64 v[217:218], v[190:191], s[28:29]
	v_add_f64 v[12:13], v[219:220], v[12:13]
	v_fma_f64 v[219:220], v[178:179], s[34:35], -v[196:197]
	v_fma_f64 v[198:199], v[178:179], s[26:27], -v[215:216]
	v_add_f64 v[186:187], v[186:187], v[138:139]
	v_add_f64 v[14:15], v[211:212], v[14:15]
	v_fma_f64 v[196:197], v[178:179], s[34:35], v[196:197]
	v_mul_f64 v[211:212], v[174:175], s[28:29]
	v_add_f64 v[209:210], v[221:222], v[209:210]
	v_mul_f64 v[221:222], v[190:191], s[18:19]
	v_add_f64 v[18:19], v[184:185], v[18:19]
	v_fma_f64 v[184:185], v[178:179], s[16:17], -v[200:201]
	v_add_f64 v[229:230], v[194:195], v[144:145]
	v_fma_f64 v[144:145], v[176:177], s[16:17], v[192:193]
	v_add_f64 v[20:21], v[202:203], v[20:21]
	v_fma_f64 v[194:195], v[176:177], s[26:27], v[180:181]
	v_fma_f64 v[180:181], v[176:177], s[26:27], -v[180:181]
	v_add_f64 v[206:207], v[213:214], v[206:207]
	v_fma_f64 v[138:139], v[188:189], s[24:25], v[217:218]
	v_fma_f64 v[217:218], v[188:189], s[24:25], -v[217:218]
	v_mul_f64 v[213:214], v[190:191], s[20:21]
	v_add_f64 v[6:7], v[219:220], v[6:7]
	v_fma_f64 v[219:220], v[176:177], s[34:35], -v[204:205]
	v_fma_f64 v[204:205], v[176:177], s[34:35], v[204:205]
	v_add_f64 v[12:13], v[198:199], v[12:13]
	v_fma_f64 v[198:199], v[178:179], s[26:27], v[215:216]
	v_fma_f64 v[178:179], v[178:179], s[16:17], v[200:201]
	v_mul_f64 v[200:201], v[190:191], s[8:9]
	v_mul_f64 v[190:191], v[190:191], s[0:1]
	v_fma_f64 v[176:177], v[176:177], s[16:17], -v[192:193]
	v_mul_f64 v[192:193], v[174:175], s[8:9]
	v_mul_f64 v[174:175], v[174:175], s[20:21]
	v_add_f64 v[202:203], v[196:197], v[10:11]
	v_fma_f64 v[10:11], v[172:173], s[2:3], v[231:232]
	v_fma_f64 v[215:216], v[172:173], s[24:25], -v[211:212]
	v_add_f64 v[233:234], v[194:195], v[209:210]
	v_fma_f64 v[209:210], v[172:173], s[16:17], -v[227:228]
	v_add_f64 v[138:139], v[138:139], v[22:23]
	v_add_f64 v[22:23], v[182:183], v[186:187]
	;; [unrolled: 1-line block ×5, first 2 shown]
	v_fma_f64 v[182:183], v[188:189], s[16:17], -v[221:222]
	v_fma_f64 v[206:207], v[188:189], s[16:17], v[221:222]
	v_fma_f64 v[14:15], v[188:189], s[22:23], -v[213:214]
	v_add_f64 v[237:238], v[204:205], v[146:147]
	v_fma_f64 v[241:242], v[188:189], s[10:11], -v[200:201]
	v_add_f64 v[144:145], v[223:224], v[8:9]
	v_fma_f64 v[8:9], v[188:189], s[2:3], -v[190:191]
	v_add_f64 v[204:205], v[219:220], v[136:137]
	v_fma_f64 v[219:220], v[172:173], s[22:23], v[174:175]
	v_fma_f64 v[217:218], v[172:173], s[24:25], v[211:212]
	;; [unrolled: 1-line block ×3, first 2 shown]
	v_fma_f64 v[213:214], v[172:173], s[22:23], -v[174:175]
	v_fma_f64 v[196:197], v[188:189], s[10:11], v[200:201]
	v_add_f64 v[200:201], v[180:181], v[229:230]
	v_fma_f64 v[186:187], v[188:189], s[2:3], v[190:191]
	v_add_f64 v[188:189], v[178:179], v[20:21]
	;; [unrolled: 2-line block ×3, first 2 shown]
	v_fma_f64 v[198:199], v[172:173], s[10:11], -v[192:193]
	v_add_f64 v[192:193], v[176:177], v[22:23]
	v_fma_f64 v[190:191], v[172:173], s[2:3], -v[231:232]
	v_add_f64 v[180:181], v[10:11], v[184:185]
	v_add_f64 v[174:175], v[182:183], v[6:7]
	s_clause 0x1
	buffer_load_dword v6, off, s[60:63], 0 offset:144
	buffer_load_dword v7, off, s[60:63], 0 offset:148
	v_add_f64 v[10:11], v[206:207], v[202:203]
	s_clause 0x2
	buffer_load_dword v207, off, s[60:63], 0 offset:120
	buffer_load_dword v206, off, s[60:63], 0 offset:116
	;; [unrolled: 1-line block ×3, first 2 shown]
	v_add_f64 v[178:179], v[241:242], v[12:13]
	v_add_f64 v[182:183], v[8:9], v[2:3]
	;; [unrolled: 1-line block ×8, first 2 shown]
	v_mul_lo_u16 v12, v239, 17
	v_add_f64 v[8:9], v[209:210], v[204:205]
	v_add_f64 v[18:19], v[186:187], v[188:189]
	;; [unrolled: 1-line block ×4, first 2 shown]
	v_and_b32_e32 v20, 0xffff, v12
	v_add_f64 v[12:13], v[198:199], v[200:201]
	v_add_f64 v[16:17], v[190:191], v[192:193]
	s_waitcnt vmcnt(3)
	v_add_f64 v[136:137], v[215:216], v[6:7]
	v_add_f64 v[6:7], v[211:212], v[4:5]
	;; [unrolled: 1-line block ×3, first 2 shown]
	s_waitcnt vmcnt(0)
	v_lshl_add_u32 v20, v20, 4, v21
	ds_write_b128 v20, v[0:3]
	ds_write_b128 v20, v[180:183] offset:16
	ds_write_b128 v20, v[176:179] offset:32
	;; [unrolled: 1-line block ×8, first 2 shown]
	s_clause 0x3
	buffer_load_dword v0, off, s[60:63], 0 offset:128
	buffer_load_dword v1, off, s[60:63], 0 offset:132
	;; [unrolled: 1-line block ×4, first 2 shown]
	s_waitcnt vmcnt(0)
	ds_write_b128 v20, v[0:3] offset:144
	ds_write_b128 v20, v[168:171] offset:160
	;; [unrolled: 1-line block ×8, first 2 shown]
.LBB0_13:
	s_or_b32 exec_lo, exec_lo, s33
	s_waitcnt lgkmcnt(0)
	s_waitcnt_vscnt null, 0x0
	s_barrier
	buffer_gl0_inv
	ds_read_b128 v[0:3], v240 offset:4352
	ds_read_b128 v[4:7], v240 offset:8704
	;; [unrolled: 1-line block ×6, first 2 shown]
	ds_read_b128 v[136:139], v240
	ds_read_b128 v[140:143], v240 offset:1088
	ds_read_b128 v[144:147], v240 offset:6528
	;; [unrolled: 1-line block ×9, first 2 shown]
	s_clause 0xb
	buffer_load_dword v24, off, s[60:63], 0 offset:36
	buffer_load_dword v25, off, s[60:63], 0 offset:40
	;; [unrolled: 1-line block ×12, first 2 shown]
	s_and_b32 s0, exec_lo, vcc_lo
	s_waitcnt lgkmcnt(15)
	v_mul_f64 v[176:177], v[30:31], v[2:3]
	v_mul_f64 v[30:31], v[30:31], v[0:1]
	s_waitcnt lgkmcnt(12)
	v_mul_f64 v[186:187], v[50:51], v[14:15]
	s_waitcnt lgkmcnt(11)
	v_mul_f64 v[188:189], v[46:47], v[18:19]
	v_mul_f64 v[46:47], v[46:47], v[16:17]
	s_waitcnt lgkmcnt(10)
	v_mul_f64 v[190:191], v[38:39], v[22:23]
	;; [unrolled: 3-line block ×3, first 2 shown]
	v_mul_f64 v[34:35], v[34:35], v[144:145]
	v_mul_f64 v[50:51], v[50:51], v[12:13]
	s_waitcnt lgkmcnt(2)
	v_mul_f64 v[200:201], v[42:43], v[166:167]
	v_mul_f64 v[42:43], v[42:43], v[164:165]
	v_fma_f64 v[0:1], v[28:29], v[0:1], v[176:177]
	v_fma_f64 v[2:3], v[28:29], v[2:3], -v[30:31]
	v_fma_f64 v[12:13], v[48:49], v[12:13], v[186:187]
	v_fma_f64 v[16:17], v[44:45], v[16:17], v[188:189]
	v_fma_f64 v[18:19], v[44:45], v[18:19], -v[46:47]
	v_fma_f64 v[20:21], v[36:37], v[20:21], v[190:191]
	v_fma_f64 v[22:23], v[36:37], v[22:23], -v[38:39]
	;; [unrolled: 2-line block ×3, first 2 shown]
	v_fma_f64 v[14:15], v[48:49], v[14:15], -v[50:51]
	v_fma_f64 v[44:45], v[40:41], v[164:165], v[200:201]
	v_fma_f64 v[40:41], v[40:41], v[166:167], -v[42:43]
	v_add_f64 v[144:145], v[140:141], -v[16:17]
	v_add_f64 v[146:147], v[142:143], -v[18:19]
	;; [unrolled: 1-line block ×3, first 2 shown]
	v_fma_f64 v[12:13], v[12:13], 2.0, -v[16:17]
	s_waitcnt vmcnt(8)
	v_mul_f64 v[178:179], v[26:27], v[6:7]
	s_waitcnt vmcnt(4)
	v_mul_f64 v[182:183], v[219:220], v[10:11]
	v_mul_f64 v[184:185], v[219:220], v[8:9]
	s_clause 0xb
	buffer_load_dword v219, off, s[60:63], 0 offset:68
	buffer_load_dword v220, off, s[60:63], 0 offset:72
	;; [unrolled: 1-line block ×12, first 2 shown]
	v_mul_f64 v[180:181], v[26:27], v[4:5]
	s_waitcnt vmcnt(12)
	v_mul_f64 v[194:195], v[225:226], v[150:151]
	v_mul_f64 v[26:27], v[225:226], v[148:149]
	s_waitcnt vmcnt(0) lgkmcnt(0)
	s_barrier
	buffer_gl0_inv
	v_fma_f64 v[4:5], v[24:25], v[4:5], v[178:179]
	v_fma_f64 v[8:9], v[217:218], v[8:9], v[182:183]
	v_fma_f64 v[10:11], v[217:218], v[10:11], -v[184:185]
	v_fma_f64 v[6:7], v[24:25], v[6:7], -v[180:181]
	v_fma_f64 v[34:35], v[223:224], v[148:149], v[194:195]
	v_fma_f64 v[24:25], v[223:224], v[150:151], -v[26:27]
	v_add_f64 v[48:49], v[136:137], -v[4:5]
	v_add_f64 v[4:5], v[0:1], -v[8:9]
	;; [unrolled: 1-line block ×7, first 2 shown]
	v_fma_f64 v[10:11], v[0:1], 2.0, -v[4:5]
	v_fma_f64 v[14:15], v[14:15], 2.0, -v[8:9]
	;; [unrolled: 1-line block ×3, first 2 shown]
	v_add_f64 v[0:1], v[48:49], v[6:7]
	v_add_f64 v[6:7], v[146:147], -v[16:17]
	v_add_f64 v[2:3], v[50:51], -v[4:5]
	v_add_f64 v[4:5], v[144:145], v[8:9]
	v_mul_f64 v[196:197], v[221:222], v[154:155]
	v_mul_f64 v[198:199], v[221:222], v[152:153]
	;; [unrolled: 1-line block ×6, first 2 shown]
	v_fma_f64 v[26:27], v[219:220], v[152:153], v[196:197]
	v_fma_f64 v[38:39], v[219:220], v[154:155], -v[198:199]
	v_fma_f64 v[42:43], v[213:214], v[168:169], v[202:203]
	v_fma_f64 v[28:29], v[209:210], v[172:173], v[28:29]
	v_fma_f64 v[30:31], v[209:210], v[174:175], -v[30:31]
	v_fma_f64 v[46:47], v[213:214], v[170:171], -v[204:205]
	v_add_f64 v[18:19], v[36:37], -v[26:27]
	v_add_f64 v[20:21], v[32:33], -v[38:39]
	;; [unrolled: 1-line block ×5, first 2 shown]
	v_fma_f64 v[38:39], v[136:137], 2.0, -v[48:49]
	v_fma_f64 v[42:43], v[138:139], 2.0, -v[50:51]
	;; [unrolled: 1-line block ×4, first 2 shown]
	v_add_f64 v[154:155], v[162:163], -v[46:47]
	v_fma_f64 v[46:47], v[140:141], 2.0, -v[144:145]
	v_fma_f64 v[140:141], v[158:159], 2.0, -v[150:151]
	;; [unrolled: 1-line block ×6, first 2 shown]
	v_add_f64 v[16:17], v[148:149], v[20:21]
	v_fma_f64 v[34:35], v[40:41], 2.0, -v[24:25]
	v_add_f64 v[8:9], v[38:39], -v[10:11]
	v_add_f64 v[10:11], v[42:43], -v[22:23]
	;; [unrolled: 1-line block ×3, first 2 shown]
	v_fma_f64 v[156:157], v[162:163], 2.0, -v[154:155]
	v_add_f64 v[12:13], v[46:47], -v[12:13]
	v_fma_f64 v[36:37], v[144:145], 2.0, -v[4:5]
	v_add_f64 v[18:19], v[150:151], -v[18:19]
	v_add_f64 v[24:25], v[152:153], v[24:25]
	v_add_f64 v[26:27], v[154:155], -v[26:27]
	v_add_f64 v[20:21], v[138:139], -v[28:29]
	;; [unrolled: 1-line block ×4, first 2 shown]
	v_fma_f64 v[32:33], v[48:49], 2.0, -v[0:1]
	v_fma_f64 v[48:49], v[148:149], 2.0, -v[16:17]
	buffer_load_dword v148, off, s[60:63], 0 offset:112 ; 4-byte Folded Reload
	v_fma_f64 v[40:41], v[38:39], 2.0, -v[8:9]
	v_fma_f64 v[42:43], v[42:43], 2.0, -v[10:11]
	v_add_f64 v[30:31], v[156:157], -v[34:35]
	v_fma_f64 v[34:35], v[50:51], 2.0, -v[2:3]
	v_fma_f64 v[44:45], v[46:47], 2.0, -v[12:13]
	;; [unrolled: 1-line block ×5, first 2 shown]
	s_waitcnt vmcnt(0)
	ds_write_b128 v148, v[0:3] offset:816
	ds_write_b128 v148, v[32:35] offset:272
	;; [unrolled: 1-line block ×3, first 2 shown]
	ds_write_b128 v148, v[40:43]
	buffer_load_dword v0, off, s[60:63], 0 offset:108 ; 4-byte Folded Reload
	v_fma_f64 v[136:137], v[138:139], 2.0, -v[20:21]
	v_fma_f64 v[138:139], v[140:141], 2.0, -v[22:23]
	;; [unrolled: 1-line block ×6, first 2 shown]
	s_waitcnt vmcnt(0)
	ds_write_b128 v0, v[44:47]
	ds_write_b128 v0, v[36:39] offset:272
	ds_write_b128 v0, v[12:15] offset:544
	ds_write_b128 v0, v[4:7] offset:816
	buffer_load_dword v0, off, s[60:63], 0 offset:104 ; 4-byte Folded Reload
	s_waitcnt vmcnt(0)
	ds_write_b128 v0, v[136:139]
	ds_write_b128 v0, v[48:51] offset:272
	ds_write_b128 v0, v[20:23] offset:544
	;; [unrolled: 1-line block ×3, first 2 shown]
	buffer_load_dword v0, off, s[60:63], 0 offset:100 ; 4-byte Folded Reload
	s_waitcnt vmcnt(0)
	ds_write_b128 v0, v[144:147]
	ds_write_b128 v0, v[140:143] offset:272
	ds_write_b128 v0, v[28:31] offset:544
	;; [unrolled: 1-line block ×3, first 2 shown]
	s_waitcnt lgkmcnt(0)
	s_barrier
	buffer_gl0_inv
	ds_read_b128 v[0:3], v240 offset:4352
	ds_read_b128 v[4:7], v240 offset:8704
	;; [unrolled: 1-line block ×6, first 2 shown]
	ds_read_b128 v[24:27], v240
	ds_read_b128 v[28:31], v240 offset:1088
	ds_read_b128 v[32:35], v240 offset:6528
	;; [unrolled: 1-line block ×9, first 2 shown]
	s_waitcnt lgkmcnt(0)
	s_barrier
	buffer_gl0_inv
	v_mul_f64 v[148:149], v[70:71], v[2:3]
	v_mul_f64 v[150:151], v[70:71], v[0:1]
	;; [unrolled: 1-line block ×24, first 2 shown]
	v_fma_f64 v[0:1], v[68:69], v[0:1], v[148:149]
	v_fma_f64 v[2:3], v[68:69], v[2:3], -v[150:151]
	v_fma_f64 v[4:5], v[64:65], v[4:5], v[152:153]
	v_fma_f64 v[6:7], v[64:65], v[6:7], -v[154:155]
	;; [unrolled: 2-line block ×12, first 2 shown]
	v_add_f64 v[64:65], v[24:25], -v[4:5]
	v_add_f64 v[66:67], v[26:27], -v[6:7]
	;; [unrolled: 1-line block ×16, first 2 shown]
	v_fma_f64 v[42:43], v[24:25], 2.0, -v[64:65]
	v_fma_f64 v[60:61], v[26:27], 2.0, -v[66:67]
	v_fma_f64 v[18:19], v[0:1], 2.0, -v[4:5]
	v_fma_f64 v[20:21], v[2:3], 2.0, -v[6:7]
	v_add_f64 v[0:1], v[64:65], v[6:7]
	v_add_f64 v[2:3], v[66:67], -v[4:5]
	v_fma_f64 v[62:63], v[28:29], 2.0, -v[68:69]
	v_fma_f64 v[76:77], v[30:31], 2.0, -v[70:71]
	v_fma_f64 v[22:23], v[12:13], 2.0, -v[8:9]
	v_fma_f64 v[24:25], v[14:15], 2.0, -v[10:11]
	v_add_f64 v[4:5], v[68:69], v[10:11]
	v_add_f64 v[6:7], v[70:71], -v[8:9]
	;; [unrolled: 6-line block ×3, first 2 shown]
	v_fma_f64 v[82:83], v[48:49], 2.0, -v[56:57]
	v_fma_f64 v[84:85], v[50:51], 2.0, -v[58:59]
	;; [unrolled: 1-line block ×4, first 2 shown]
	v_add_f64 v[12:13], v[42:43], -v[18:19]
	v_add_f64 v[14:15], v[60:61], -v[20:21]
	v_fma_f64 v[34:35], v[66:67], 2.0, -v[2:3]
	v_add_f64 v[16:17], v[62:63], -v[22:23]
	v_add_f64 v[18:19], v[76:77], -v[24:25]
	v_add_f64 v[24:25], v[56:57], v[40:41]
	v_fma_f64 v[36:37], v[68:69], 2.0, -v[4:5]
	v_add_f64 v[20:21], v[78:79], -v[26:27]
	v_add_f64 v[22:23], v[80:81], -v[28:29]
	;; [unrolled: 1-line block ×3, first 2 shown]
	v_fma_f64 v[38:39], v[70:71], 2.0, -v[6:7]
	v_fma_f64 v[40:41], v[72:73], 2.0, -v[8:9]
	v_add_f64 v[28:29], v[82:83], -v[30:31]
	v_add_f64 v[30:31], v[84:85], -v[32:33]
	v_fma_f64 v[32:33], v[64:65], 2.0, -v[0:1]
	v_fma_f64 v[44:45], v[42:43], 2.0, -v[12:13]
	;; [unrolled: 1-line block ×12, first 2 shown]
	ds_write_b128 v240, v[0:3] offset:3264
	ds_write_b128 v240, v[4:7] offset:7616
	;; [unrolled: 1-line block ×6, first 2 shown]
	ds_write_b128 v240, v[44:47]
	ds_write_b128 v240, v[48:51] offset:4352
	ds_write_b128 v245, v[52:55] offset:8704
	;; [unrolled: 1-line block ×9, first 2 shown]
	s_waitcnt lgkmcnt(0)
	s_barrier
	buffer_gl0_inv
	ds_read_b128 v[0:3], v240 offset:8704
	ds_read_b128 v[4:7], v240 offset:9792
	;; [unrolled: 1-line block ×8, first 2 shown]
	ds_read_b128 v[32:35], v240
	ds_read_b128 v[36:39], v240 offset:1088
	ds_read_b128 v[40:43], v240 offset:2176
	;; [unrolled: 1-line block ×5, first 2 shown]
	s_waitcnt lgkmcnt(13)
	v_mul_f64 v[56:57], v[94:95], v[2:3]
	v_mul_f64 v[58:59], v[94:95], v[0:1]
	s_waitcnt lgkmcnt(12)
	v_mul_f64 v[60:61], v[90:91], v[6:7]
	v_mul_f64 v[62:63], v[90:91], v[4:5]
	;; [unrolled: 3-line block ×8, first 2 shown]
	v_fma_f64 v[56:57], v[92:93], v[0:1], v[56:57]
	v_fma_f64 v[58:59], v[92:93], v[2:3], -v[58:59]
	v_fma_f64 v[60:61], v[88:89], v[4:5], v[60:61]
	v_fma_f64 v[62:63], v[88:89], v[6:7], -v[62:63]
	;; [unrolled: 2-line block ×8, first 2 shown]
	ds_read_b128 v[0:3], v240 offset:6528
	ds_read_b128 v[4:7], v240 offset:7616
	s_waitcnt lgkmcnt(0)
	s_barrier
	buffer_gl0_inv
	v_add_f64 v[8:9], v[32:33], -v[56:57]
	v_add_f64 v[10:11], v[34:35], -v[58:59]
	;; [unrolled: 1-line block ×16, first 2 shown]
	v_fma_f64 v[32:33], v[32:33], 2.0, -v[8:9]
	v_fma_f64 v[34:35], v[34:35], 2.0, -v[10:11]
	v_fma_f64 v[36:37], v[36:37], 2.0, -v[12:13]
	v_fma_f64 v[38:39], v[38:39], 2.0, -v[14:15]
	v_fma_f64 v[40:41], v[40:41], 2.0, -v[16:17]
	v_fma_f64 v[42:43], v[42:43], 2.0, -v[18:19]
	v_fma_f64 v[44:45], v[44:45], 2.0, -v[20:21]
	v_fma_f64 v[46:47], v[46:47], 2.0, -v[22:23]
	v_fma_f64 v[48:49], v[48:49], 2.0, -v[24:25]
	v_fma_f64 v[50:51], v[50:51], 2.0, -v[26:27]
	v_fma_f64 v[52:53], v[52:53], 2.0, -v[28:29]
	v_fma_f64 v[54:55], v[54:55], 2.0, -v[30:31]
	v_fma_f64 v[0:1], v[0:1], 2.0, -v[56:57]
	v_fma_f64 v[2:3], v[2:3], 2.0, -v[58:59]
	v_fma_f64 v[4:5], v[4:5], 2.0, -v[60:61]
	v_fma_f64 v[6:7], v[6:7], 2.0, -v[62:63]
	ds_write_b128 v240, v[8:11] offset:4352
	ds_write_b128 v240, v[12:15] offset:5440
	;; [unrolled: 1-line block ×8, first 2 shown]
	ds_write_b128 v240, v[32:35]
	ds_write_b128 v240, v[36:39] offset:1088
	ds_write_b128 v240, v[40:43] offset:2176
	ds_write_b128 v240, v[44:47] offset:3264
	ds_write_b128 v240, v[48:51] offset:8704
	ds_write_b128 v240, v[52:55] offset:9792
	ds_write_b128 v240, v[0:3] offset:10880
	ds_write_b128 v240, v[4:7] offset:11968
	s_waitcnt lgkmcnt(0)
	s_barrier
	buffer_gl0_inv
	ds_read_b128 v[0:3], v240 offset:8704
	ds_read_b128 v[4:7], v240 offset:9792
	;; [unrolled: 1-line block ×8, first 2 shown]
	ds_read_b128 v[32:35], v240
	ds_read_b128 v[36:39], v240 offset:1088
	ds_read_b128 v[40:43], v240 offset:2176
	;; [unrolled: 1-line block ×5, first 2 shown]
	s_waitcnt lgkmcnt(13)
	v_mul_f64 v[56:57], v[118:119], v[2:3]
	v_mul_f64 v[58:59], v[118:119], v[0:1]
	s_waitcnt lgkmcnt(12)
	v_mul_f64 v[60:61], v[114:115], v[6:7]
	v_mul_f64 v[62:63], v[114:115], v[4:5]
	;; [unrolled: 3-line block ×8, first 2 shown]
	v_fma_f64 v[56:57], v[116:117], v[0:1], v[56:57]
	v_fma_f64 v[58:59], v[116:117], v[2:3], -v[58:59]
	v_fma_f64 v[60:61], v[112:113], v[4:5], v[60:61]
	v_fma_f64 v[62:63], v[112:113], v[6:7], -v[62:63]
	;; [unrolled: 2-line block ×7, first 2 shown]
	v_fma_f64 v[84:85], v[132:133], v[28:29], v[84:85]
	ds_read_b128 v[0:3], v240 offset:6528
	ds_read_b128 v[4:7], v240 offset:7616
	v_fma_f64 v[86:87], v[132:133], v[30:31], -v[86:87]
	s_waitcnt lgkmcnt(7)
	v_add_f64 v[8:9], v[32:33], -v[56:57]
	v_add_f64 v[10:11], v[34:35], -v[58:59]
	s_waitcnt lgkmcnt(6)
	v_add_f64 v[12:13], v[36:37], -v[60:61]
	v_add_f64 v[14:15], v[38:39], -v[62:63]
	;; [unrolled: 3-line block ×8, first 2 shown]
	v_fma_f64 v[32:33], v[32:33], 2.0, -v[8:9]
	v_fma_f64 v[34:35], v[34:35], 2.0, -v[10:11]
	;; [unrolled: 1-line block ×16, first 2 shown]
	ds_write_b128 v246, v[8:11] offset:8704
	ds_write_b128 v246, v[12:15] offset:9792
	;; [unrolled: 1-line block ×6, first 2 shown]
	ds_write_b128 v246, v[32:35]
	ds_write_b128 v246, v[36:39] offset:1088
	ds_write_b128 v246, v[40:43] offset:2176
	;; [unrolled: 1-line block ×9, first 2 shown]
	s_waitcnt lgkmcnt(0)
	s_barrier
	buffer_gl0_inv
	buffer_load_dword v12, off, s[60:63], 0 ; 4-byte Folded Reload
	s_mov_b32 exec_lo, s0
	s_cbranch_execz .LBB0_15
; %bb.14:
	global_load_dwordx4 v[0:3], v254, s[12:13]
	ds_read_b128 v[4:7], v248
	v_mad_u64_u32 v[10:11], null, s6, v208, 0
	s_mov_b32 s0, 0x1e1e1e1e
	s_mov_b32 s1, 0x3f4e1e1e
	v_or_b32_e32 v17, 0xc0, v239
	s_waitcnt vmcnt(0) lgkmcnt(0)
	v_mul_f64 v[8:9], v[6:7], v[2:3]
	v_mul_f64 v[2:3], v[4:5], v[2:3]
	v_fma_f64 v[4:5], v[4:5], v[0:1], v[8:9]
	v_fma_f64 v[0:1], v[0:1], v[6:7], -v[2:3]
	v_mad_u64_u32 v[6:7], null, s4, v239, 0
	v_mov_b32_e32 v2, v11
	v_mov_b32_e32 v3, v7
	v_mad_u64_u32 v[7:8], null, s7, v208, v[2:3]
	v_mad_u64_u32 v[8:9], null, s5, v239, v[3:4]
	v_mov_b32_e32 v11, v7
	v_mul_f64 v[2:3], v[4:5], s[0:1]
	v_mul_f64 v[4:5], v[0:1], s[0:1]
	v_lshlrev_b64 v[0:1], 4, v[10:11]
	v_mov_b32_e32 v7, v8
	v_add_co_u32 v0, vcc_lo, s14, v0
	v_lshlrev_b64 v[6:7], 4, v[6:7]
	v_add_co_ci_u32_e32 v1, vcc_lo, s15, v1, vcc_lo
	v_add_co_u32 v6, vcc_lo, v0, v6
	v_add_co_ci_u32_e32 v7, vcc_lo, v1, v7, vcc_lo
	global_store_dwordx4 v[6:7], v[2:5], off
	global_load_dwordx4 v[3:6], v254, s[12:13] offset:1024
	v_lshlrev_b32_e32 v2, 4, v239
	v_lshl_add_u32 v2, v12, 4, v2
	ds_read_b128 v[7:10], v2 offset:1024
	ds_read_b128 v[11:14], v2 offset:2048
	s_waitcnt vmcnt(0) lgkmcnt(1)
	v_mul_f64 v[15:16], v[9:10], v[5:6]
	v_mul_f64 v[5:6], v[7:8], v[5:6]
	v_fma_f64 v[7:8], v[7:8], v[3:4], v[15:16]
	v_fma_f64 v[5:6], v[3:4], v[9:10], -v[5:6]
	v_or_b32_e32 v4, 64, v239
	v_mad_u64_u32 v[9:10], null, s4, v4, 0
	v_mov_b32_e32 v3, v10
	v_mad_u64_u32 v[15:16], null, s5, v4, v[3:4]
	v_mul_f64 v[3:4], v[7:8], s[0:1]
	v_mul_f64 v[5:6], v[5:6], s[0:1]
	v_mov_b32_e32 v10, v15
	v_or_b32_e32 v15, 0x80, v239
	v_lshlrev_b64 v[7:8], 4, v[9:10]
	v_lshlrev_b32_e32 v9, 4, v15
	v_add_co_u32 v7, vcc_lo, v0, v7
	v_add_co_ci_u32_e32 v8, vcc_lo, v1, v8, vcc_lo
	global_store_dwordx4 v[7:8], v[3:6], off
	global_load_dwordx4 v[3:6], v9, s[12:13]
	v_mad_u64_u32 v[9:10], null, s4, v15, 0
	s_waitcnt vmcnt(0) lgkmcnt(0)
	v_mul_f64 v[7:8], v[13:14], v[5:6]
	v_mul_f64 v[5:6], v[11:12], v[5:6]
	v_fma_f64 v[7:8], v[11:12], v[3:4], v[7:8]
	v_fma_f64 v[5:6], v[3:4], v[13:14], -v[5:6]
	v_mov_b32_e32 v3, v10
	v_mad_u64_u32 v[10:11], null, s5, v15, v[3:4]
	v_mul_f64 v[3:4], v[7:8], s[0:1]
	v_mul_f64 v[5:6], v[5:6], s[0:1]
	v_lshlrev_b64 v[7:8], 4, v[9:10]
	v_lshlrev_b32_e32 v9, 4, v17
	v_add_co_u32 v7, vcc_lo, v0, v7
	v_add_co_ci_u32_e32 v8, vcc_lo, v1, v8, vcc_lo
	global_store_dwordx4 v[7:8], v[3:6], off
	global_load_dwordx4 v[3:6], v9, s[12:13]
	ds_read_b128 v[7:10], v2 offset:3072
	ds_read_b128 v[11:14], v2 offset:4096
	s_waitcnt vmcnt(0) lgkmcnt(1)
	v_mul_f64 v[15:16], v[9:10], v[5:6]
	v_mul_f64 v[5:6], v[7:8], v[5:6]
	v_fma_f64 v[7:8], v[7:8], v[3:4], v[15:16]
	v_fma_f64 v[5:6], v[3:4], v[9:10], -v[5:6]
	v_mad_u64_u32 v[9:10], null, s4, v17, 0
	v_mov_b32_e32 v3, v10
	v_mad_u64_u32 v[15:16], null, s5, v17, v[3:4]
	v_or_b32_e32 v17, 0x140, v239
	v_mul_f64 v[3:4], v[7:8], s[0:1]
	v_mul_f64 v[5:6], v[5:6], s[0:1]
	v_mov_b32_e32 v10, v15
	v_or_b32_e32 v15, 0x100, v239
	v_lshlrev_b64 v[7:8], 4, v[9:10]
	v_lshlrev_b32_e32 v9, 4, v15
	v_add_co_u32 v7, vcc_lo, v0, v7
	v_add_co_ci_u32_e32 v8, vcc_lo, v1, v8, vcc_lo
	global_store_dwordx4 v[7:8], v[3:6], off
	global_load_dwordx4 v[3:6], v9, s[12:13]
	v_mad_u64_u32 v[9:10], null, s4, v15, 0
	s_waitcnt vmcnt(0) lgkmcnt(0)
	v_mul_f64 v[7:8], v[13:14], v[5:6]
	v_mul_f64 v[5:6], v[11:12], v[5:6]
	v_fma_f64 v[7:8], v[11:12], v[3:4], v[7:8]
	v_fma_f64 v[5:6], v[3:4], v[13:14], -v[5:6]
	v_mov_b32_e32 v3, v10
	v_mad_u64_u32 v[10:11], null, s5, v15, v[3:4]
	v_mul_f64 v[3:4], v[7:8], s[0:1]
	v_mul_f64 v[5:6], v[5:6], s[0:1]
	v_lshlrev_b64 v[7:8], 4, v[9:10]
	v_lshlrev_b32_e32 v9, 4, v17
	v_add_co_u32 v7, vcc_lo, v0, v7
	v_add_co_ci_u32_e32 v8, vcc_lo, v1, v8, vcc_lo
	global_store_dwordx4 v[7:8], v[3:6], off
	global_load_dwordx4 v[3:6], v9, s[12:13]
	ds_read_b128 v[7:10], v2 offset:5120
	ds_read_b128 v[11:14], v2 offset:6144
	s_waitcnt vmcnt(0) lgkmcnt(1)
	v_mul_f64 v[15:16], v[9:10], v[5:6]
	v_mul_f64 v[5:6], v[7:8], v[5:6]
	v_fma_f64 v[7:8], v[7:8], v[3:4], v[15:16]
	v_fma_f64 v[5:6], v[3:4], v[9:10], -v[5:6]
	v_mad_u64_u32 v[9:10], null, s4, v17, 0
	v_mov_b32_e32 v3, v10
	v_mad_u64_u32 v[15:16], null, s5, v17, v[3:4]
	v_or_b32_e32 v17, 0x1c0, v239
	;; [unrolled: 37-line block ×6, first 2 shown]
	v_mul_f64 v[3:4], v[7:8], s[0:1]
	v_mul_f64 v[5:6], v[5:6], s[0:1]
	v_mov_b32_e32 v10, v15
	v_or_b32_e32 v15, 0x380, v239
	v_lshlrev_b64 v[7:8], 4, v[9:10]
	v_lshlrev_b32_e32 v9, 4, v15
	v_add_co_u32 v7, vcc_lo, v0, v7
	v_add_co_ci_u32_e32 v8, vcc_lo, v1, v8, vcc_lo
	global_store_dwordx4 v[7:8], v[3:6], off
	global_load_dwordx4 v[3:6], v9, s[12:13]
	v_mad_u64_u32 v[9:10], null, s4, v15, 0
	s_waitcnt vmcnt(0) lgkmcnt(0)
	v_mul_f64 v[7:8], v[13:14], v[5:6]
	v_mul_f64 v[5:6], v[11:12], v[5:6]
	v_fma_f64 v[7:8], v[11:12], v[3:4], v[7:8]
	v_fma_f64 v[5:6], v[3:4], v[13:14], -v[5:6]
	v_mov_b32_e32 v3, v10
	v_mad_u64_u32 v[10:11], null, s5, v15, v[3:4]
	v_mul_f64 v[3:4], v[7:8], s[0:1]
	v_mul_f64 v[5:6], v[5:6], s[0:1]
	v_lshlrev_b64 v[7:8], 4, v[9:10]
	v_lshlrev_b32_e32 v9, 4, v17
	v_add_co_u32 v7, vcc_lo, v0, v7
	v_add_co_ci_u32_e32 v8, vcc_lo, v1, v8, vcc_lo
	global_store_dwordx4 v[7:8], v[3:6], off
	global_load_dwordx4 v[3:6], v9, s[12:13]
	ds_read_b128 v[7:10], v2 offset:15360
	ds_read_b128 v[11:14], v2 offset:16384
	s_waitcnt vmcnt(0) lgkmcnt(1)
	v_mul_f64 v[15:16], v[9:10], v[5:6]
	v_mul_f64 v[5:6], v[7:8], v[5:6]
	v_fma_f64 v[7:8], v[7:8], v[3:4], v[15:16]
	v_fma_f64 v[4:5], v[3:4], v[9:10], -v[5:6]
	v_mad_u64_u32 v[9:10], null, s4, v17, 0
	v_mov_b32_e32 v2, v10
	v_mad_u64_u32 v[15:16], null, s5, v17, v[2:3]
	v_mul_f64 v[2:3], v[7:8], s[0:1]
	v_mul_f64 v[4:5], v[4:5], s[0:1]
	v_mov_b32_e32 v10, v15
	v_lshlrev_b64 v[6:7], 4, v[9:10]
	v_or_b32_e32 v10, 0x400, v239
	v_add_co_u32 v6, vcc_lo, v0, v6
	v_add_co_ci_u32_e32 v7, vcc_lo, v1, v7, vcc_lo
	v_lshlrev_b32_e32 v8, 4, v10
	global_store_dwordx4 v[6:7], v[2:5], off
	global_load_dwordx4 v[2:5], v8, s[12:13]
	v_mad_u64_u32 v[8:9], null, s4, v10, 0
	s_waitcnt vmcnt(0) lgkmcnt(0)
	v_mul_f64 v[6:7], v[13:14], v[4:5]
	v_mul_f64 v[4:5], v[11:12], v[4:5]
	v_fma_f64 v[6:7], v[11:12], v[2:3], v[6:7]
	v_fma_f64 v[4:5], v[2:3], v[13:14], -v[4:5]
	v_mov_b32_e32 v2, v9
                                        ; kill: def $vgpr3 killed $sgpr0 killed $exec
	v_mad_u64_u32 v[9:10], null, s5, v10, v[2:3]
	v_mul_f64 v[2:3], v[6:7], s[0:1]
	v_mul_f64 v[4:5], v[4:5], s[0:1]
	v_lshlrev_b64 v[6:7], 4, v[8:9]
	v_add_co_u32 v0, vcc_lo, v0, v6
	v_add_co_ci_u32_e32 v1, vcc_lo, v1, v7, vcc_lo
	global_store_dwordx4 v[0:1], v[2:5], off
.LBB0_15:
	s_endpgm
	.section	.rodata,"a",@progbits
	.p2align	6, 0x0
	.amdhsa_kernel bluestein_single_fwd_len1088_dim1_dp_op_CI_CI
		.amdhsa_group_segment_fixed_size 52224
		.amdhsa_private_segment_fixed_size 156
		.amdhsa_kernarg_size 104
		.amdhsa_user_sgpr_count 6
		.amdhsa_user_sgpr_private_segment_buffer 1
		.amdhsa_user_sgpr_dispatch_ptr 0
		.amdhsa_user_sgpr_queue_ptr 0
		.amdhsa_user_sgpr_kernarg_segment_ptr 1
		.amdhsa_user_sgpr_dispatch_id 0
		.amdhsa_user_sgpr_flat_scratch_init 0
		.amdhsa_user_sgpr_private_segment_size 0
		.amdhsa_wavefront_size32 1
		.amdhsa_uses_dynamic_stack 0
		.amdhsa_system_sgpr_private_segment_wavefront_offset 1
		.amdhsa_system_sgpr_workgroup_id_x 1
		.amdhsa_system_sgpr_workgroup_id_y 0
		.amdhsa_system_sgpr_workgroup_id_z 0
		.amdhsa_system_sgpr_workgroup_info 0
		.amdhsa_system_vgpr_workitem_id 0
		.amdhsa_next_free_vgpr 256
		.amdhsa_next_free_sgpr 64
		.amdhsa_reserve_vcc 1
		.amdhsa_reserve_flat_scratch 0
		.amdhsa_float_round_mode_32 0
		.amdhsa_float_round_mode_16_64 0
		.amdhsa_float_denorm_mode_32 3
		.amdhsa_float_denorm_mode_16_64 3
		.amdhsa_dx10_clamp 1
		.amdhsa_ieee_mode 1
		.amdhsa_fp16_overflow 0
		.amdhsa_workgroup_processor_mode 1
		.amdhsa_memory_ordered 1
		.amdhsa_forward_progress 0
		.amdhsa_shared_vgpr_count 0
		.amdhsa_exception_fp_ieee_invalid_op 0
		.amdhsa_exception_fp_denorm_src 0
		.amdhsa_exception_fp_ieee_div_zero 0
		.amdhsa_exception_fp_ieee_overflow 0
		.amdhsa_exception_fp_ieee_underflow 0
		.amdhsa_exception_fp_ieee_inexact 0
		.amdhsa_exception_int_div_zero 0
	.end_amdhsa_kernel
	.text
.Lfunc_end0:
	.size	bluestein_single_fwd_len1088_dim1_dp_op_CI_CI, .Lfunc_end0-bluestein_single_fwd_len1088_dim1_dp_op_CI_CI
                                        ; -- End function
	.section	.AMDGPU.csdata,"",@progbits
; Kernel info:
; codeLenInByte = 28504
; NumSgprs: 66
; NumVgprs: 256
; ScratchSize: 156
; MemoryBound: 0
; FloatMode: 240
; IeeeMode: 1
; LDSByteSize: 52224 bytes/workgroup (compile time only)
; SGPRBlocks: 8
; VGPRBlocks: 31
; NumSGPRsForWavesPerEU: 66
; NumVGPRsForWavesPerEU: 256
; Occupancy: 4
; WaveLimiterHint : 1
; COMPUTE_PGM_RSRC2:SCRATCH_EN: 1
; COMPUTE_PGM_RSRC2:USER_SGPR: 6
; COMPUTE_PGM_RSRC2:TRAP_HANDLER: 0
; COMPUTE_PGM_RSRC2:TGID_X_EN: 1
; COMPUTE_PGM_RSRC2:TGID_Y_EN: 0
; COMPUTE_PGM_RSRC2:TGID_Z_EN: 0
; COMPUTE_PGM_RSRC2:TIDIG_COMP_CNT: 0
	.text
	.p2alignl 6, 3214868480
	.fill 48, 4, 3214868480
	.type	__hip_cuid_830c52dafee0dde3,@object ; @__hip_cuid_830c52dafee0dde3
	.section	.bss,"aw",@nobits
	.globl	__hip_cuid_830c52dafee0dde3
__hip_cuid_830c52dafee0dde3:
	.byte	0                               ; 0x0
	.size	__hip_cuid_830c52dafee0dde3, 1

	.ident	"AMD clang version 19.0.0git (https://github.com/RadeonOpenCompute/llvm-project roc-6.4.0 25133 c7fe45cf4b819c5991fe208aaa96edf142730f1d)"
	.section	".note.GNU-stack","",@progbits
	.addrsig
	.addrsig_sym __hip_cuid_830c52dafee0dde3
	.amdgpu_metadata
---
amdhsa.kernels:
  - .args:
      - .actual_access:  read_only
        .address_space:  global
        .offset:         0
        .size:           8
        .value_kind:     global_buffer
      - .actual_access:  read_only
        .address_space:  global
        .offset:         8
        .size:           8
        .value_kind:     global_buffer
      - .actual_access:  read_only
        .address_space:  global
        .offset:         16
        .size:           8
        .value_kind:     global_buffer
      - .actual_access:  read_only
        .address_space:  global
        .offset:         24
        .size:           8
        .value_kind:     global_buffer
      - .actual_access:  read_only
        .address_space:  global
        .offset:         32
        .size:           8
        .value_kind:     global_buffer
      - .offset:         40
        .size:           8
        .value_kind:     by_value
      - .address_space:  global
        .offset:         48
        .size:           8
        .value_kind:     global_buffer
      - .address_space:  global
        .offset:         56
        .size:           8
        .value_kind:     global_buffer
      - .address_space:  global
        .offset:         64
        .size:           8
        .value_kind:     global_buffer
      - .address_space:  global
        .offset:         72
        .size:           8
        .value_kind:     global_buffer
      - .offset:         80
        .size:           4
        .value_kind:     by_value
      - .address_space:  global
        .offset:         88
        .size:           8
        .value_kind:     global_buffer
      - .address_space:  global
        .offset:         96
        .size:           8
        .value_kind:     global_buffer
    .group_segment_fixed_size: 52224
    .kernarg_segment_align: 8
    .kernarg_segment_size: 104
    .language:       OpenCL C
    .language_version:
      - 2
      - 0
    .max_flat_workgroup_size: 204
    .name:           bluestein_single_fwd_len1088_dim1_dp_op_CI_CI
    .private_segment_fixed_size: 156
    .sgpr_count:     66
    .sgpr_spill_count: 0
    .symbol:         bluestein_single_fwd_len1088_dim1_dp_op_CI_CI.kd
    .uniform_work_group_size: 1
    .uses_dynamic_stack: false
    .vgpr_count:     256
    .vgpr_spill_count: 38
    .wavefront_size: 32
    .workgroup_processor_mode: 1
amdhsa.target:   amdgcn-amd-amdhsa--gfx1030
amdhsa.version:
  - 1
  - 2
...

	.end_amdgpu_metadata
